;; amdgpu-corpus repo=ROCm/rocFFT kind=compiled arch=gfx906 opt=O3
	.text
	.amdgcn_target "amdgcn-amd-amdhsa--gfx906"
	.amdhsa_code_object_version 6
	.protected	fft_rtc_fwd_len1920_factors_10_6_16_2_wgs_240_tpt_120_halfLds_dp_op_CI_CI_sbrr_dirReg ; -- Begin function fft_rtc_fwd_len1920_factors_10_6_16_2_wgs_240_tpt_120_halfLds_dp_op_CI_CI_sbrr_dirReg
	.globl	fft_rtc_fwd_len1920_factors_10_6_16_2_wgs_240_tpt_120_halfLds_dp_op_CI_CI_sbrr_dirReg
	.p2align	8
	.type	fft_rtc_fwd_len1920_factors_10_6_16_2_wgs_240_tpt_120_halfLds_dp_op_CI_CI_sbrr_dirReg,@function
fft_rtc_fwd_len1920_factors_10_6_16_2_wgs_240_tpt_120_halfLds_dp_op_CI_CI_sbrr_dirReg: ; @fft_rtc_fwd_len1920_factors_10_6_16_2_wgs_240_tpt_120_halfLds_dp_op_CI_CI_sbrr_dirReg
; %bb.0:
	s_load_dwordx4 s[16:19], s[4:5], 0x18
	s_load_dwordx4 s[12:15], s[4:5], 0x0
	;; [unrolled: 1-line block ×3, first 2 shown]
	v_mul_u32_u24_e32 v1, 0x223, v0
	v_lshrrev_b32_e32 v80, 16, v1
	s_waitcnt lgkmcnt(0)
	s_load_dwordx2 s[2:3], s[16:17], 0x0
	s_load_dwordx2 s[20:21], s[18:19], 0x0
	v_cmp_lt_u64_e64 s[0:1], s[14:15], 2
	v_mov_b32_e32 v1, 0
	v_mov_b32_e32 v4, 0
	v_lshl_add_u32 v6, s6, 1, v80
	v_mov_b32_e32 v7, v1
	s_and_b64 vcc, exec, s[0:1]
	v_mov_b32_e32 v5, 0
	s_cbranch_vccnz .LBB0_8
; %bb.1:
	s_load_dwordx2 s[0:1], s[4:5], 0x10
	s_add_u32 s6, s18, 8
	s_addc_u32 s7, s19, 0
	s_add_u32 s22, s16, 8
	v_mov_b32_e32 v4, 0
	s_addc_u32 s23, s17, 0
	v_mov_b32_e32 v5, 0
	s_waitcnt lgkmcnt(0)
	s_add_u32 s24, s0, 8
	v_mov_b32_e32 v115, v5
	s_addc_u32 s25, s1, 0
	s_mov_b64 s[26:27], 1
	v_mov_b32_e32 v114, v4
.LBB0_2:                                ; =>This Inner Loop Header: Depth=1
	s_load_dwordx2 s[28:29], s[24:25], 0x0
                                        ; implicit-def: $vgpr116_vgpr117
	s_waitcnt lgkmcnt(0)
	v_or_b32_e32 v2, s29, v7
	v_cmp_ne_u64_e32 vcc, 0, v[1:2]
	s_and_saveexec_b64 s[0:1], vcc
	s_xor_b64 s[30:31], exec, s[0:1]
	s_cbranch_execz .LBB0_4
; %bb.3:                                ;   in Loop: Header=BB0_2 Depth=1
	v_cvt_f32_u32_e32 v2, s28
	v_cvt_f32_u32_e32 v3, s29
	s_sub_u32 s0, 0, s28
	s_subb_u32 s1, 0, s29
	v_mac_f32_e32 v2, 0x4f800000, v3
	v_rcp_f32_e32 v2, v2
	v_mul_f32_e32 v2, 0x5f7ffffc, v2
	v_mul_f32_e32 v3, 0x2f800000, v2
	v_trunc_f32_e32 v3, v3
	v_mac_f32_e32 v2, 0xcf800000, v3
	v_cvt_u32_f32_e32 v3, v3
	v_cvt_u32_f32_e32 v2, v2
	v_mul_lo_u32 v8, s0, v3
	v_mul_hi_u32 v9, s0, v2
	v_mul_lo_u32 v11, s1, v2
	v_mul_lo_u32 v10, s0, v2
	v_add_u32_e32 v8, v9, v8
	v_add_u32_e32 v8, v8, v11
	v_mul_hi_u32 v9, v2, v10
	v_mul_lo_u32 v11, v2, v8
	v_mul_hi_u32 v13, v2, v8
	v_mul_hi_u32 v12, v3, v10
	v_mul_lo_u32 v10, v3, v10
	v_mul_hi_u32 v14, v3, v8
	v_add_co_u32_e32 v9, vcc, v9, v11
	v_addc_co_u32_e32 v11, vcc, 0, v13, vcc
	v_mul_lo_u32 v8, v3, v8
	v_add_co_u32_e32 v9, vcc, v9, v10
	v_addc_co_u32_e32 v9, vcc, v11, v12, vcc
	v_addc_co_u32_e32 v10, vcc, 0, v14, vcc
	v_add_co_u32_e32 v8, vcc, v9, v8
	v_addc_co_u32_e32 v9, vcc, 0, v10, vcc
	v_add_co_u32_e32 v2, vcc, v2, v8
	v_addc_co_u32_e32 v3, vcc, v3, v9, vcc
	v_mul_lo_u32 v8, s0, v3
	v_mul_hi_u32 v9, s0, v2
	v_mul_lo_u32 v10, s1, v2
	v_mul_lo_u32 v11, s0, v2
	v_add_u32_e32 v8, v9, v8
	v_add_u32_e32 v8, v8, v10
	v_mul_lo_u32 v12, v2, v8
	v_mul_hi_u32 v13, v2, v11
	v_mul_hi_u32 v14, v2, v8
	;; [unrolled: 1-line block ×3, first 2 shown]
	v_mul_lo_u32 v11, v3, v11
	v_mul_hi_u32 v9, v3, v8
	v_add_co_u32_e32 v12, vcc, v13, v12
	v_addc_co_u32_e32 v13, vcc, 0, v14, vcc
	v_mul_lo_u32 v8, v3, v8
	v_add_co_u32_e32 v11, vcc, v12, v11
	v_addc_co_u32_e32 v10, vcc, v13, v10, vcc
	v_addc_co_u32_e32 v9, vcc, 0, v9, vcc
	v_add_co_u32_e32 v8, vcc, v10, v8
	v_addc_co_u32_e32 v9, vcc, 0, v9, vcc
	v_add_co_u32_e32 v8, vcc, v2, v8
	v_addc_co_u32_e32 v9, vcc, v3, v9, vcc
	v_mad_u64_u32 v[2:3], s[0:1], v6, v9, 0
	v_mul_hi_u32 v10, v6, v8
	v_add_co_u32_e32 v10, vcc, v10, v2
	v_addc_co_u32_e32 v11, vcc, 0, v3, vcc
	v_mad_u64_u32 v[2:3], s[0:1], v7, v8, 0
	v_mad_u64_u32 v[8:9], s[0:1], v7, v9, 0
	v_add_co_u32_e32 v2, vcc, v10, v2
	v_addc_co_u32_e32 v2, vcc, v11, v3, vcc
	v_addc_co_u32_e32 v3, vcc, 0, v9, vcc
	v_add_co_u32_e32 v8, vcc, v2, v8
	v_addc_co_u32_e32 v9, vcc, 0, v3, vcc
	v_mul_lo_u32 v10, s29, v8
	v_mul_lo_u32 v11, s28, v9
	v_mad_u64_u32 v[2:3], s[0:1], s28, v8, 0
	v_add3_u32 v3, v3, v11, v10
	v_sub_u32_e32 v10, v7, v3
	v_mov_b32_e32 v11, s29
	v_sub_co_u32_e32 v2, vcc, v6, v2
	v_subb_co_u32_e64 v10, s[0:1], v10, v11, vcc
	v_subrev_co_u32_e64 v11, s[0:1], s28, v2
	v_subbrev_co_u32_e64 v10, s[0:1], 0, v10, s[0:1]
	v_cmp_le_u32_e64 s[0:1], s29, v10
	v_cndmask_b32_e64 v12, 0, -1, s[0:1]
	v_cmp_le_u32_e64 s[0:1], s28, v11
	v_cndmask_b32_e64 v11, 0, -1, s[0:1]
	v_cmp_eq_u32_e64 s[0:1], s29, v10
	v_cndmask_b32_e64 v10, v12, v11, s[0:1]
	v_add_co_u32_e64 v11, s[0:1], 2, v8
	v_addc_co_u32_e64 v12, s[0:1], 0, v9, s[0:1]
	v_add_co_u32_e64 v13, s[0:1], 1, v8
	v_addc_co_u32_e64 v14, s[0:1], 0, v9, s[0:1]
	v_subb_co_u32_e32 v3, vcc, v7, v3, vcc
	v_cmp_ne_u32_e64 s[0:1], 0, v10
	v_cmp_le_u32_e32 vcc, s29, v3
	v_cndmask_b32_e64 v10, v14, v12, s[0:1]
	v_cndmask_b32_e64 v12, 0, -1, vcc
	v_cmp_le_u32_e32 vcc, s28, v2
	v_cndmask_b32_e64 v2, 0, -1, vcc
	v_cmp_eq_u32_e32 vcc, s29, v3
	v_cndmask_b32_e32 v2, v12, v2, vcc
	v_cmp_ne_u32_e32 vcc, 0, v2
	v_cndmask_b32_e64 v2, v13, v11, s[0:1]
	v_cndmask_b32_e32 v117, v9, v10, vcc
	v_cndmask_b32_e32 v116, v8, v2, vcc
.LBB0_4:                                ;   in Loop: Header=BB0_2 Depth=1
	s_andn2_saveexec_b64 s[0:1], s[30:31]
	s_cbranch_execz .LBB0_6
; %bb.5:                                ;   in Loop: Header=BB0_2 Depth=1
	v_cvt_f32_u32_e32 v2, s28
	s_sub_i32 s30, 0, s28
	v_mov_b32_e32 v117, v1
	v_rcp_iflag_f32_e32 v2, v2
	v_mul_f32_e32 v2, 0x4f7ffffe, v2
	v_cvt_u32_f32_e32 v2, v2
	v_mul_lo_u32 v3, s30, v2
	v_mul_hi_u32 v3, v2, v3
	v_add_u32_e32 v2, v2, v3
	v_mul_hi_u32 v2, v6, v2
	v_mul_lo_u32 v3, v2, s28
	v_add_u32_e32 v8, 1, v2
	v_sub_u32_e32 v3, v6, v3
	v_subrev_u32_e32 v9, s28, v3
	v_cmp_le_u32_e32 vcc, s28, v3
	v_cndmask_b32_e32 v3, v3, v9, vcc
	v_cndmask_b32_e32 v2, v2, v8, vcc
	v_add_u32_e32 v8, 1, v2
	v_cmp_le_u32_e32 vcc, s28, v3
	v_cndmask_b32_e32 v116, v2, v8, vcc
.LBB0_6:                                ;   in Loop: Header=BB0_2 Depth=1
	s_or_b64 exec, exec, s[0:1]
	v_mul_lo_u32 v8, v117, s28
	v_mul_lo_u32 v9, v116, s29
	v_mad_u64_u32 v[2:3], s[0:1], v116, s28, 0
	s_load_dwordx2 s[0:1], s[22:23], 0x0
	s_load_dwordx2 s[28:29], s[6:7], 0x0
	v_add3_u32 v3, v3, v9, v8
	v_sub_co_u32_e32 v2, vcc, v6, v2
	v_subb_co_u32_e32 v3, vcc, v7, v3, vcc
	s_waitcnt lgkmcnt(0)
	v_mul_lo_u32 v6, s0, v3
	v_mul_lo_u32 v7, s1, v2
	v_mad_u64_u32 v[4:5], s[0:1], s0, v2, v[4:5]
	v_mul_lo_u32 v3, s28, v3
	v_mul_lo_u32 v8, s29, v2
	v_mad_u64_u32 v[114:115], s[0:1], s28, v2, v[114:115]
	s_add_u32 s26, s26, 1
	s_addc_u32 s27, s27, 0
	s_add_u32 s6, s6, 8
	v_add3_u32 v115, v8, v115, v3
	s_addc_u32 s7, s7, 0
	v_mov_b32_e32 v2, s14
	s_add_u32 s22, s22, 8
	v_mov_b32_e32 v3, s15
	s_addc_u32 s23, s23, 0
	v_cmp_ge_u64_e32 vcc, s[26:27], v[2:3]
	s_add_u32 s24, s24, 8
	v_add3_u32 v5, v7, v5, v6
	s_addc_u32 s25, s25, 0
	s_cbranch_vccnz .LBB0_9
; %bb.7:                                ;   in Loop: Header=BB0_2 Depth=1
	v_mov_b32_e32 v6, v116
	v_mov_b32_e32 v7, v117
	s_branch .LBB0_2
.LBB0_8:
	v_mov_b32_e32 v115, v5
	v_mov_b32_e32 v117, v7
	;; [unrolled: 1-line block ×4, first 2 shown]
.LBB0_9:
	s_load_dwordx2 s[0:1], s[4:5], 0x28
	s_lshl_b64 s[14:15], s[14:15], 3
	s_add_u32 s4, s18, s14
	s_addc_u32 s5, s19, s15
                                        ; implicit-def: $vgpr112
	s_waitcnt lgkmcnt(0)
	v_cmp_gt_u64_e32 vcc, s[0:1], v[116:117]
	v_cmp_le_u64_e64 s[0:1], s[0:1], v[116:117]
	s_and_saveexec_b64 s[6:7], s[0:1]
	s_xor_b64 s[0:1], exec, s[6:7]
; %bb.10:
	s_mov_b32 s6, 0x2222223
	v_mul_hi_u32 v1, v0, s6
                                        ; implicit-def: $vgpr4_vgpr5
	v_mul_u32_u24_e32 v1, 0x78, v1
	v_sub_u32_e32 v112, v0, v1
                                        ; implicit-def: $vgpr0
; %bb.11:
	s_or_saveexec_b64 s[6:7], s[0:1]
	s_load_dwordx2 s[4:5], s[4:5], 0x0
                                        ; implicit-def: $vgpr2_vgpr3
                                        ; implicit-def: $vgpr14_vgpr15
                                        ; implicit-def: $vgpr10_vgpr11
                                        ; implicit-def: $vgpr22_vgpr23
                                        ; implicit-def: $vgpr18_vgpr19
                                        ; implicit-def: $vgpr26_vgpr27
                                        ; implicit-def: $vgpr38_vgpr39
                                        ; implicit-def: $vgpr46_vgpr47
                                        ; implicit-def: $vgpr34_vgpr35
                                        ; implicit-def: $vgpr50_vgpr51
                                        ; implicit-def: $vgpr54_vgpr55
                                        ; implicit-def: $vgpr62_vgpr63
                                        ; implicit-def: $vgpr70_vgpr71
                                        ; implicit-def: $vgpr78_vgpr79
                                        ; implicit-def: $vgpr66_vgpr67
                                        ; implicit-def: $vgpr74_vgpr75
                                        ; implicit-def: $vgpr58_vgpr59
                                        ; implicit-def: $vgpr30_vgpr31
                                        ; implicit-def: $vgpr42_vgpr43
                                        ; implicit-def: $vgpr6_vgpr7
	s_xor_b64 exec, exec, s[6:7]
	s_cbranch_execz .LBB0_15
; %bb.12:
	s_add_u32 s0, s16, s14
	s_mov_b32 s14, 0x2222223
	s_addc_u32 s1, s17, s15
	v_mul_hi_u32 v1, v0, s14
	s_load_dwordx2 s[0:1], s[0:1], 0x0
                                        ; implicit-def: $vgpr56_vgpr57
                                        ; implicit-def: $vgpr72_vgpr73
                                        ; implicit-def: $vgpr64_vgpr65
                                        ; implicit-def: $vgpr76_vgpr77
                                        ; implicit-def: $vgpr68_vgpr69
                                        ; implicit-def: $vgpr60_vgpr61
                                        ; implicit-def: $vgpr52_vgpr53
                                        ; implicit-def: $vgpr48_vgpr49
                                        ; implicit-def: $vgpr44_vgpr45
	v_mul_u32_u24_e32 v1, 0x78, v1
	v_sub_u32_e32 v112, v0, v1
	s_waitcnt lgkmcnt(0)
	v_mul_lo_u32 v8, s1, v116
	v_mad_u64_u32 v[0:1], s[14:15], s2, v112, 0
	v_mul_lo_u32 v9, s0, v117
	v_mad_u64_u32 v[2:3], s[0:1], s0, v116, 0
	v_add_u32_e32 v17, 0x240, v112
	v_add_u32_e32 v26, 0x3c0, v112
	v_mad_u64_u32 v[6:7], s[0:1], s3, v112, v[1:2]
	v_add3_u32 v3, v3, v9, v8
	v_lshlrev_b64 v[2:3], 4, v[2:3]
	v_mov_b32_e32 v1, v6
	v_mov_b32_e32 v6, s9
	v_add_co_u32_e64 v7, s[0:1], s8, v2
	v_add_u32_e32 v8, 0xc0, v112
	v_addc_co_u32_e64 v6, s[0:1], v6, v3, s[0:1]
	v_lshlrev_b64 v[2:3], 4, v[4:5]
	v_mad_u64_u32 v[4:5], s[0:1], s2, v8, 0
	v_add_co_u32_e64 v70, s[0:1], v7, v2
	v_mov_b32_e32 v2, v5
	v_addc_co_u32_e64 v71, s[0:1], v6, v3, s[0:1]
	v_mad_u64_u32 v[2:3], s[0:1], s3, v8, v[2:3]
	v_lshlrev_b64 v[0:1], 4, v[0:1]
	v_add_u32_e32 v33, 0x540, v112
	v_add_co_u32_e64 v8, s[0:1], v70, v0
	v_mov_b32_e32 v5, v2
	v_or_b32_e32 v2, 0x180, v112
	v_addc_co_u32_e64 v9, s[0:1], v71, v1, s[0:1]
	v_mad_u64_u32 v[10:11], s[0:1], s2, v2, 0
	v_lshlrev_b64 v[0:1], 4, v[4:5]
	v_add_u32_e32 v37, 0x6c0, v112
	v_add_co_u32_e64 v12, s[0:1], v70, v0
	v_mov_b32_e32 v0, v11
	v_addc_co_u32_e64 v13, s[0:1], v71, v1, s[0:1]
	v_mad_u64_u32 v[14:15], s[0:1], s3, v2, v[0:1]
	v_mad_u64_u32 v[15:16], s[0:1], s2, v17, 0
	v_mov_b32_e32 v11, v14
	global_load_dwordx4 v[4:7], v[8:9], off
	global_load_dwordx4 v[0:3], v[12:13], off
	v_lshlrev_b64 v[8:9], 4, v[10:11]
	v_mov_b32_e32 v10, v16
	v_mad_u64_u32 v[10:11], s[0:1], s3, v17, v[10:11]
	v_add_co_u32_e64 v17, s[0:1], v70, v8
	v_mov_b32_e32 v16, v10
	v_or_b32_e32 v10, 0x300, v112
	v_addc_co_u32_e64 v18, s[0:1], v71, v9, s[0:1]
	v_mad_u64_u32 v[19:20], s[0:1], s2, v10, 0
	v_lshlrev_b64 v[8:9], 4, v[15:16]
	v_add_co_u32_e64 v21, s[0:1], v70, v8
	v_mov_b32_e32 v8, v20
	v_addc_co_u32_e64 v22, s[0:1], v71, v9, s[0:1]
	v_mad_u64_u32 v[23:24], s[0:1], s3, v10, v[8:9]
	v_mad_u64_u32 v[24:25], s[0:1], s2, v26, 0
	global_load_dwordx4 v[12:15], v[17:18], off
	global_load_dwordx4 v[8:11], v[21:22], off
	v_mov_b32_e32 v20, v23
	v_mov_b32_e32 v18, v25
	v_lshlrev_b64 v[16:17], 4, v[19:20]
	v_mad_u64_u32 v[18:19], s[0:1], s3, v26, v[18:19]
	v_add_co_u32_e64 v26, s[0:1], v70, v16
	v_mov_b32_e32 v25, v18
	v_or_b32_e32 v18, 0x480, v112
	v_addc_co_u32_e64 v27, s[0:1], v71, v17, s[0:1]
	v_lshlrev_b64 v[16:17], 4, v[24:25]
	v_mad_u64_u32 v[24:25], s[0:1], s2, v18, 0
	v_add_co_u32_e64 v28, s[0:1], v70, v16
	v_mov_b32_e32 v16, v25
	v_addc_co_u32_e64 v29, s[0:1], v71, v17, s[0:1]
	v_mad_u64_u32 v[30:31], s[0:1], s3, v18, v[16:17]
	v_mad_u64_u32 v[31:32], s[0:1], s2, v33, 0
	global_load_dwordx4 v[20:23], v[26:27], off
	global_load_dwordx4 v[16:19], v[28:29], off
	v_mov_b32_e32 v25, v30
	v_mov_b32_e32 v26, v32
	v_mad_u64_u32 v[26:27], s[0:1], s3, v33, v[26:27]
	v_lshlrev_b64 v[24:25], 4, v[24:25]
	v_add_co_u32_e64 v28, s[0:1], v70, v24
	v_mov_b32_e32 v32, v26
	v_or_b32_e32 v26, 0x600, v112
	v_addc_co_u32_e64 v29, s[0:1], v71, v25, s[0:1]
	v_lshlrev_b64 v[24:25], 4, v[31:32]
	v_mad_u64_u32 v[30:31], s[0:1], s2, v26, 0
	v_add_co_u32_e64 v32, s[0:1], v70, v24
	v_mov_b32_e32 v24, v31
	v_addc_co_u32_e64 v33, s[0:1], v71, v25, s[0:1]
	v_mad_u64_u32 v[34:35], s[0:1], s3, v26, v[24:25]
	v_mad_u64_u32 v[35:36], s[0:1], s2, v37, 0
	v_mov_b32_e32 v31, v34
	global_load_dwordx4 v[40:43], v[28:29], off
	global_load_dwordx4 v[24:27], v[32:33], off
	v_lshlrev_b64 v[28:29], 4, v[30:31]
	v_mov_b32_e32 v30, v36
	v_mad_u64_u32 v[30:31], s[0:1], s3, v37, v[30:31]
	v_add_co_u32_e64 v32, s[0:1], v70, v28
	v_mov_b32_e32 v36, v30
	v_addc_co_u32_e64 v33, s[0:1], v71, v29, s[0:1]
	v_lshlrev_b64 v[28:29], 4, v[35:36]
	v_add_co_u32_e64 v34, s[0:1], v70, v28
	v_addc_co_u32_e64 v35, s[0:1], v71, v29, s[0:1]
	global_load_dwordx4 v[36:39], v[32:33], off
	global_load_dwordx4 v[28:31], v[34:35], off
	s_movk_i32 s0, 0x48
	v_cmp_gt_u32_e64 s[0:1], s0, v112
                                        ; implicit-def: $vgpr32_vgpr33
	s_and_saveexec_b64 s[8:9], s[0:1]
	s_cbranch_execz .LBB0_14
; %bb.13:
	v_add_u32_e32 v44, 0x78, v112
	v_add_u32_e32 v46, 0x138, v112
	v_mad_u64_u32 v[32:33], s[0:1], s2, v44, 0
	v_mad_u64_u32 v[34:35], s[0:1], s2, v46, 0
	v_add_u32_e32 v57, 0x2b8, v112
	v_add_u32_e32 v66, 0x438, v112
	v_mad_u64_u32 v[44:45], s[0:1], s3, v44, v[33:34]
	v_add_u32_e32 v75, 0x5b8, v112
	v_add_u32_e32 v84, 0x738, v112
	v_mov_b32_e32 v33, v44
	s_waitcnt vmcnt(1)
	v_mad_u64_u32 v[44:45], s[0:1], s3, v46, v[35:36]
	v_lshlrev_b64 v[32:33], 4, v[32:33]
	v_add_co_u32_e64 v48, s[0:1], v70, v32
	v_mov_b32_e32 v35, v44
	v_addc_co_u32_e64 v49, s[0:1], v71, v33, s[0:1]
	v_lshlrev_b64 v[32:33], 4, v[34:35]
	v_add_u32_e32 v34, 0x1f8, v112
	v_mad_u64_u32 v[50:51], s[0:1], s2, v34, 0
	v_add_co_u32_e64 v52, s[0:1], v70, v32
	v_mov_b32_e32 v32, v51
	v_addc_co_u32_e64 v53, s[0:1], v71, v33, s[0:1]
	v_mad_u64_u32 v[54:55], s[0:1], s3, v34, v[32:33]
	v_mad_u64_u32 v[55:56], s[0:1], s2, v57, 0
	v_mov_b32_e32 v51, v54
	global_load_dwordx4 v[44:47], v[48:49], off
	global_load_dwordx4 v[32:35], v[52:53], off
	v_lshlrev_b64 v[48:49], 4, v[50:51]
	v_mov_b32_e32 v50, v56
	v_mad_u64_u32 v[50:51], s[0:1], s3, v57, v[50:51]
	v_add_co_u32_e64 v57, s[0:1], v70, v48
	v_mov_b32_e32 v56, v50
	v_add_u32_e32 v50, 0x378, v112
	v_addc_co_u32_e64 v58, s[0:1], v71, v49, s[0:1]
	v_mad_u64_u32 v[59:60], s[0:1], s2, v50, 0
	v_lshlrev_b64 v[48:49], 4, v[55:56]
	v_add_co_u32_e64 v61, s[0:1], v70, v48
	v_mov_b32_e32 v48, v60
	v_addc_co_u32_e64 v62, s[0:1], v71, v49, s[0:1]
	v_mad_u64_u32 v[63:64], s[0:1], s3, v50, v[48:49]
	v_mad_u64_u32 v[64:65], s[0:1], s2, v66, 0
	global_load_dwordx4 v[48:51], v[57:58], off
	global_load_dwordx4 v[52:55], v[61:62], off
	v_mov_b32_e32 v60, v63
	v_mov_b32_e32 v58, v65
	v_lshlrev_b64 v[56:57], 4, v[59:60]
	v_mad_u64_u32 v[58:59], s[0:1], s3, v66, v[58:59]
	v_add_co_u32_e64 v66, s[0:1], v70, v56
	v_mov_b32_e32 v65, v58
	v_add_u32_e32 v58, 0x4f8, v112
	v_addc_co_u32_e64 v67, s[0:1], v71, v57, s[0:1]
	v_lshlrev_b64 v[56:57], 4, v[64:65]
	v_mad_u64_u32 v[64:65], s[0:1], s2, v58, 0
	v_add_co_u32_e64 v68, s[0:1], v70, v56
	v_mov_b32_e32 v56, v65
	v_addc_co_u32_e64 v69, s[0:1], v71, v57, s[0:1]
	v_mad_u64_u32 v[72:73], s[0:1], s3, v58, v[56:57]
	v_mad_u64_u32 v[73:74], s[0:1], s2, v75, 0
	global_load_dwordx4 v[60:63], v[66:67], off
	global_load_dwordx4 v[56:59], v[68:69], off
	v_mov_b32_e32 v65, v72
	v_mov_b32_e32 v66, v74
	v_mad_u64_u32 v[66:67], s[0:1], s3, v75, v[66:67]
	v_lshlrev_b64 v[64:65], 4, v[64:65]
	v_add_co_u32_e64 v68, s[0:1], v70, v64
	v_mov_b32_e32 v74, v66
	v_add_u32_e32 v66, 0x678, v112
	v_addc_co_u32_e64 v69, s[0:1], v71, v65, s[0:1]
	v_mad_u64_u32 v[76:77], s[0:1], s2, v66, 0
	v_lshlrev_b64 v[64:65], 4, v[73:74]
	v_add_co_u32_e64 v78, s[0:1], v70, v64
	v_mov_b32_e32 v64, v77
	v_addc_co_u32_e64 v79, s[0:1], v71, v65, s[0:1]
	v_mad_u64_u32 v[81:82], s[0:1], s3, v66, v[64:65]
	v_mad_u64_u32 v[82:83], s[0:1], s2, v84, 0
	v_mov_b32_e32 v77, v81
	global_load_dwordx4 v[72:75], v[68:69], off
	global_load_dwordx4 v[64:67], v[78:79], off
	v_lshlrev_b64 v[68:69], 4, v[76:77]
	v_mov_b32_e32 v76, v83
	v_mad_u64_u32 v[76:77], s[0:1], s3, v84, v[76:77]
	v_add_co_u32_e64 v84, s[0:1], v70, v68
	v_mov_b32_e32 v83, v76
	v_addc_co_u32_e64 v85, s[0:1], v71, v69, s[0:1]
	v_lshlrev_b64 v[68:69], 4, v[82:83]
	v_add_co_u32_e64 v81, s[0:1], v70, v68
	v_addc_co_u32_e64 v82, s[0:1], v71, v69, s[0:1]
	global_load_dwordx4 v[76:79], v[84:85], off
	global_load_dwordx4 v[68:71], v[81:82], off
.LBB0_14:
	s_or_b64 exec, exec, s[8:9]
.LBB0_15:
	s_or_b64 exec, exec, s[6:7]
	s_waitcnt vmcnt(1)
	v_add_f64 v[87:88], v[12:13], v[36:37]
	v_add_f64 v[81:82], v[20:21], v[40:41]
	v_add_f64 v[85:86], v[22:23], -v[42:43]
	v_add_f64 v[89:90], v[12:13], -v[20:21]
	;; [unrolled: 1-line block ×3, first 2 shown]
	v_add_f64 v[93:94], v[16:17], v[24:25]
	s_mov_b32 s2, 0x134454ff
	s_mov_b32 s3, 0x3fee6f0e
	v_fma_f64 v[87:88], v[87:88], -0.5, v[4:5]
	s_mov_b32 s9, 0xbfee6f0e
	s_mov_b32 s8, s2
	v_add_f64 v[83:84], v[14:15], -v[38:39]
	v_fma_f64 v[81:82], v[81:82], -0.5, v[4:5]
	s_waitcnt vmcnt(0)
	v_add_f64 v[99:100], v[10:11], -v[30:31]
	v_fma_f64 v[93:94], v[93:94], -0.5, v[0:1]
	v_add_f64 v[89:90], v[89:90], v[91:92]
	v_fma_f64 v[91:92], v[85:86], s[8:9], v[87:88]
	v_fma_f64 v[87:88], v[85:86], s[2:3], v[87:88]
	s_mov_b32 s6, 0x4755a5e
	s_mov_b32 s7, 0x3fe2cf23
	;; [unrolled: 1-line block ×4, first 2 shown]
	v_add_f64 v[95:96], v[20:21], -v[12:13]
	v_fma_f64 v[97:98], v[83:84], s[2:3], v[81:82]
	v_fma_f64 v[81:82], v[83:84], s[8:9], v[81:82]
	v_add_f64 v[101:102], v[8:9], v[28:29]
	v_add_f64 v[103:104], v[40:41], -v[36:37]
	v_fma_f64 v[105:106], v[99:100], s[2:3], v[93:94]
	v_add_f64 v[107:108], v[18:19], -v[26:27]
	v_add_f64 v[109:110], v[8:9], -v[16:17]
	;; [unrolled: 1-line block ×3, first 2 shown]
	v_fma_f64 v[91:92], v[83:84], s[6:7], v[91:92]
	v_fma_f64 v[83:84], v[83:84], s[14:15], v[87:88]
	v_add_f64 v[87:88], v[18:19], v[26:27]
	v_fma_f64 v[97:98], v[85:86], s[6:7], v[97:98]
	v_fma_f64 v[81:82], v[85:86], s[14:15], v[81:82]
	v_fma_f64 v[85:86], v[101:102], -0.5, v[0:1]
	v_add_f64 v[95:96], v[95:96], v[103:104]
	v_fma_f64 v[101:102], v[107:108], s[6:7], v[105:106]
	v_fma_f64 v[93:94], v[99:100], s[8:9], v[93:94]
	v_add_f64 v[103:104], v[16:17], -v[8:9]
	v_add_f64 v[105:106], v[24:25], -v[28:29]
	v_add_f64 v[109:110], v[109:110], v[118:119]
	v_add_f64 v[118:119], v[10:11], v[30:31]
	v_fma_f64 v[87:88], v[87:88], -0.5, v[2:3]
	v_add_f64 v[122:123], v[8:9], -v[28:29]
	v_fma_f64 v[120:121], v[107:108], s[8:9], v[85:86]
	v_fma_f64 v[85:86], v[107:108], s[2:3], v[85:86]
	;; [unrolled: 1-line block ×3, first 2 shown]
	v_add_f64 v[107:108], v[10:11], -v[18:19]
	v_add_f64 v[103:104], v[103:104], v[105:106]
	v_fma_f64 v[105:106], v[118:119], -0.5, v[2:3]
	v_add_f64 v[118:119], v[16:17], -v[24:25]
	v_add_f64 v[124:125], v[30:31], -v[26:27]
	v_fma_f64 v[126:127], v[122:123], s[8:9], v[87:88]
	v_fma_f64 v[120:121], v[99:100], s[6:7], v[120:121]
	;; [unrolled: 1-line block ×4, first 2 shown]
	v_add_f64 v[99:100], v[18:19], -v[10:11]
	v_add_f64 v[128:129], v[26:27], -v[30:31]
	v_add_f64 v[4:5], v[12:13], v[4:5]
	v_add_f64 v[107:108], v[107:108], v[124:125]
	v_fma_f64 v[124:125], v[118:119], s[14:15], v[126:127]
	v_add_f64 v[0:1], v[0:1], v[8:9]
	s_mov_b32 s16, 0x372fe950
	s_mov_b32 s17, 0x3fd3c6ef
	v_fma_f64 v[130:131], v[118:119], s[2:3], v[105:106]
	v_fma_f64 v[105:106], v[118:119], s[8:9], v[105:106]
	;; [unrolled: 1-line block ×3, first 2 shown]
	v_add_f64 v[99:100], v[99:100], v[128:129]
	v_add_f64 v[128:129], v[20:21], v[4:5]
	v_fma_f64 v[8:9], v[103:104], s[16:17], v[120:121]
	v_add_f64 v[16:17], v[0:1], v[16:17]
	v_fma_f64 v[120:121], v[107:108], s[16:17], v[124:125]
	v_fma_f64 v[126:127], v[122:123], s[14:15], v[130:131]
	;; [unrolled: 1-line block ×7, first 2 shown]
	v_add_f64 v[85:86], v[40:41], v[128:129]
	v_fma_f64 v[87:88], v[89:90], s[16:17], v[97:98]
	v_add_f64 v[93:94], v[16:17], v[24:25]
	v_mul_f64 v[97:98], v[120:121], s[6:7]
	s_mov_b32 s18, 0x9b97f4a8
	s_mov_b32 s19, 0x3fe9e377
	v_fma_f64 v[24:25], v[99:100], s[16:17], v[105:106]
	v_mul_f64 v[101:102], v[0:1], s[16:17]
	v_add_f64 v[85:86], v[36:37], v[85:86]
	v_mul_f64 v[103:104], v[4:5], s[18:19]
	v_add_f64 v[28:29], v[93:94], v[28:29]
	v_fma_f64 v[93:94], v[122:123], s[18:19], v[97:98]
	v_fma_f64 v[16:17], v[99:100], s[16:17], v[126:127]
	v_mul_f64 v[99:100], v[8:9], s[16:17]
	v_fma_f64 v[91:92], v[95:96], s[16:17], v[91:92]
	v_fma_f64 v[83:84], v[95:96], s[16:17], v[83:84]
	;; [unrolled: 1-line block ×3, first 2 shown]
	v_fma_f64 v[89:90], v[24:25], s[2:3], -v[101:102]
	v_fma_f64 v[95:96], v[118:119], s[6:7], -v[103:104]
	v_add_f64 v[104:105], v[28:29], v[85:86]
	v_add_f64 v[106:107], v[93:94], v[87:88]
	v_add_f64 v[108:109], v[87:88], -v[93:94]
	v_add_f64 v[87:88], v[60:61], v[72:73]
	v_add_f64 v[142:143], v[85:86], -v[28:29]
	v_add_f64 v[28:29], v[48:49], v[76:77]
	v_fma_f64 v[97:98], v[16:17], s[2:3], v[99:100]
	v_add_f64 v[138:139], v[83:84], v[89:90]
	v_add_f64 v[140:141], v[95:96], v[81:82]
	v_add_f64 v[144:145], v[83:84], -v[89:90]
	v_add_f64 v[146:147], v[81:82], -v[95:96]
	v_and_b32_e32 v84, 1, v80
	v_fma_f64 v[80:81], v[87:88], -0.5, v[44:45]
	v_add_f64 v[82:83], v[50:51], -v[78:79]
	v_add_f64 v[86:87], v[62:63], -v[74:75]
	v_fma_f64 v[28:29], v[28:29], -0.5, v[44:45]
	v_mov_b32_e32 v85, 0x780
	v_cmp_eq_u32_e64 s[0:1], 1, v84
	v_add_f64 v[110:111], v[91:92], -v[97:98]
	v_add_f64 v[136:137], v[91:92], v[97:98]
	v_cndmask_b32_e64 v102, 0, v85, s[0:1]
	v_add_f64 v[84:85], v[48:49], -v[60:61]
	v_add_f64 v[88:89], v[76:77], -v[72:73]
	v_fma_f64 v[90:91], v[82:83], s[2:3], v[80:81]
	v_add_f64 v[92:93], v[64:65], v[56:57]
	v_fma_f64 v[80:81], v[82:83], s[8:9], v[80:81]
	v_add_f64 v[94:95], v[60:61], -v[48:49]
	v_add_f64 v[96:97], v[72:73], -v[76:77]
	v_fma_f64 v[98:99], v[86:87], s[8:9], v[28:29]
	v_add_f64 v[100:101], v[54:55], -v[70:71]
	v_add_f64 v[84:85], v[84:85], v[88:89]
	v_fma_f64 v[88:89], v[86:87], s[6:7], v[90:91]
	v_fma_f64 v[90:91], v[92:93], -0.5, v[32:33]
	v_fma_f64 v[80:81], v[86:87], s[14:15], v[80:81]
	v_fma_f64 v[28:29], v[86:87], s[2:3], v[28:29]
	v_add_f64 v[86:87], v[94:95], v[96:97]
	v_fma_f64 v[94:95], v[82:83], s[6:7], v[98:99]
	v_add_f64 v[96:97], v[52:53], v[68:69]
	v_add_f64 v[98:99], v[52:53], -v[56:57]
	v_add_f64 v[124:125], v[68:69], -v[64:65]
	v_fma_f64 v[126:127], v[100:101], s[2:3], v[90:91]
	v_add_f64 v[128:129], v[58:59], -v[66:67]
	v_fma_f64 v[82:83], v[82:83], s[14:15], v[28:29]
	v_fma_f64 v[92:93], v[84:85], s[16:17], v[80:81]
	;; [unrolled: 1-line block ×3, first 2 shown]
	v_fma_f64 v[28:29], v[96:97], -0.5, v[32:33]
	v_fma_f64 v[80:81], v[100:101], s[8:9], v[90:91]
	v_add_f64 v[94:95], v[54:55], v[70:71]
	v_add_f64 v[90:91], v[124:125], v[98:99]
	v_fma_f64 v[96:97], v[128:129], s[6:7], v[126:127]
	v_add_f64 v[98:99], v[66:67], v[58:59]
	v_add_f64 v[124:125], v[56:57], -v[52:53]
	v_add_f64 v[126:127], v[64:65], -v[68:69]
	v_fma_f64 v[130:131], v[128:129], s[8:9], v[28:29]
	v_fma_f64 v[80:81], v[128:129], s[14:15], v[80:81]
	;; [unrolled: 1-line block ×3, first 2 shown]
	v_fma_f64 v[94:95], v[94:95], -0.5, v[34:35]
	v_add_f64 v[128:129], v[56:57], -v[64:65]
	v_fma_f64 v[98:99], v[98:99], -0.5, v[34:35]
	v_add_f64 v[134:135], v[52:53], -v[68:69]
	v_add_f64 v[148:149], v[126:127], v[124:125]
	v_add_f64 v[124:125], v[58:59], -v[54:55]
	v_add_f64 v[126:127], v[66:67], -v[70:71]
	v_fma_f64 v[130:131], v[100:101], s[6:7], v[130:131]
	v_add_f64 v[150:151], v[54:55], -v[58:59]
	v_fma_f64 v[152:153], v[128:129], s[2:3], v[94:95]
	;; [unrolled: 2-line block ×3, first 2 shown]
	v_fma_f64 v[28:29], v[100:101], s[14:15], v[28:29]
	v_fma_f64 v[98:99], v[134:135], s[2:3], v[98:99]
	;; [unrolled: 1-line block ×3, first 2 shown]
	v_add_f64 v[100:101], v[126:127], v[124:125]
	v_add_f64 v[44:45], v[44:45], v[48:49]
	v_fma_f64 v[124:125], v[134:135], s[14:15], v[152:153]
	v_add_f64 v[32:33], v[32:33], v[52:53]
	v_add_f64 v[150:151], v[154:155], v[150:151]
	v_fma_f64 v[152:153], v[128:129], s[14:15], v[156:157]
	v_fma_f64 v[98:99], v[128:129], s[6:7], v[98:99]
	v_fma_f64 v[94:95], v[134:135], s[6:7], v[94:95]
	v_fma_f64 v[126:127], v[90:91], s[16:17], v[96:97]
	v_add_f64 v[44:45], v[44:45], v[60:61]
	v_fma_f64 v[124:125], v[100:101], s[16:17], v[124:125]
	v_fma_f64 v[52:53], v[148:149], s[16:17], v[28:29]
	;; [unrolled: 1-line block ×3, first 2 shown]
	v_add_f64 v[32:33], v[32:33], v[56:57]
	v_fma_f64 v[130:131], v[148:149], s[16:17], v[130:131]
	v_fma_f64 v[56:57], v[150:151], s[16:17], v[98:99]
	;; [unrolled: 1-line block ×3, first 2 shown]
	v_add_f64 v[44:45], v[44:45], v[72:73]
	v_mul_f64 v[80:81], v[124:125], s[2:3]
	v_mul_f64 v[90:91], v[52:53], s[16:17]
	;; [unrolled: 1-line block ×3, first 2 shown]
	v_add_f64 v[98:99], v[64:65], v[32:33]
	v_fma_f64 v[64:65], v[150:151], s[16:17], v[152:153]
	v_mul_f64 v[134:135], v[126:127], s[18:19]
	v_fma_f64 v[32:33], v[86:87], s[16:17], v[82:83]
	v_add_f64 v[44:45], v[76:77], v[44:45]
	v_fma_f64 v[148:149], v[130:131], s[16:17], v[80:81]
	v_fma_f64 v[94:95], v[128:129], s[2:3], -v[90:91]
	v_fma_f64 v[100:101], v[56:57], s[6:7], -v[96:97]
	v_add_f64 v[68:69], v[68:69], v[98:99]
	v_fma_f64 v[96:97], v[84:85], s[16:17], v[88:89]
	v_fma_f64 v[98:99], v[64:65], s[6:7], v[134:135]
	v_mul_u32_u24_e32 v103, 10, v112
	v_lshl_add_u32 v103, v103, 3, 0
	v_add_f64 v[80:81], v[132:133], v[148:149]
	v_add_f64 v[82:83], v[32:33], v[94:95]
	;; [unrolled: 1-line block ×3, first 2 shown]
	v_add_f64 v[86:87], v[44:45], -v[68:69]
	v_add_f64 v[90:91], v[132:133], -v[148:149]
	;; [unrolled: 1-line block ×3, first 2 shown]
	s_movk_i32 s0, 0x48
	v_lshl_add_u32 v135, v102, 3, v103
	v_cmp_gt_u32_e64 s[2:3], s0, v112
	ds_write_b128 v135, v[104:107]
	ds_write_b128 v135, v[136:139] offset:16
	ds_write_b128 v135, v[140:143] offset:32
	;; [unrolled: 1-line block ×4, first 2 shown]
	s_and_saveexec_b64 s[0:1], s[2:3]
	s_cbranch_execz .LBB0_17
; %bb.16:
	v_add_f64 v[106:107], v[96:97], v[98:99]
	v_add_f64 v[104:105], v[44:45], v[68:69]
	v_add_f64 v[100:101], v[92:93], -v[100:101]
	v_add_f64 v[98:99], v[32:33], -v[94:95]
	ds_write_b128 v135, v[80:83] offset:9616
	ds_write_b128 v135, v[84:87] offset:9632
	;; [unrolled: 1-line block ×5, first 2 shown]
.LBB0_17:
	s_or_b64 exec, exec, s[0:1]
	v_lshlrev_b32_e32 v113, 3, v102
	v_mul_i32_i24_e32 v32, 0xffffffb8, v112
	v_add3_u32 v133, v103, v32, v113
	v_add_u32_e32 v32, 0x300, v133
	s_waitcnt lgkmcnt(0)
	s_barrier
	ds_read2_b64 v[92:95], v32 offset0:24 offset1:224
	v_add_u32_e32 v32, 0xd00, v133
	ds_read2_b64 v[96:99], v32 offset0:24 offset1:224
	v_add_u32_e32 v32, 0x1700, v133
	;; [unrolled: 2-line block ×3, first 2 shown]
	v_lshlrev_b32_e32 v134, 3, v112
	ds_read2_b64 v[104:107], v32 offset0:24 offset1:224
	v_add_u32_e32 v32, 0x2b00, v133
	v_add3_u32 v132, 0, v113, v134
	ds_read2_b64 v[108:111], v32 offset0:24 offset1:224
	ds_read_b64 v[32:33], v132
	ds_read_b64 v[44:45], v133 offset:13760
	s_movk_i32 s0, 0x50
	v_cmp_gt_u32_e64 s[0:1], s0, v112
	s_and_saveexec_b64 s[6:7], s[0:1]
	s_cbranch_execz .LBB0_19
; %bb.18:
	v_add_u32_e32 v68, 0x180, v133
	ds_read2st64_b64 v[80:83], v68 offset0:3 offset1:8
	ds_read2st64_b64 v[84:87], v68 offset0:13 offset1:18
	;; [unrolled: 1-line block ×3, first 2 shown]
.LBB0_19:
	s_or_b64 exec, exec, s[6:7]
	v_add_f64 v[68:69], v[14:15], v[6:7]
	v_add_f64 v[136:137], v[22:23], v[42:43]
	v_add_f64 v[12:13], v[12:13], -v[36:37]
	v_add_f64 v[36:37], v[14:15], v[38:39]
	v_add_f64 v[20:21], v[20:21], -v[40:41]
	s_mov_b32 s6, 0x134454ff
	s_mov_b32 s7, 0xbfee6f0e
	;; [unrolled: 1-line block ×3, first 2 shown]
	v_add_f64 v[40:41], v[22:23], v[68:69]
	v_fma_f64 v[68:69], v[136:137], -0.5, v[6:7]
	s_mov_b32 s14, s6
	v_fma_f64 v[6:7], v[36:37], -0.5, v[6:7]
	v_add_f64 v[136:137], v[14:15], -v[22:23]
	v_add_f64 v[138:139], v[38:39], -v[42:43]
	;; [unrolled: 1-line block ×3, first 2 shown]
	v_add_f64 v[2:3], v[2:3], v[10:11]
	v_add_f64 v[36:37], v[42:43], v[40:41]
	v_fma_f64 v[40:41], v[12:13], s[6:7], v[68:69]
	v_add_f64 v[10:11], v[42:43], -v[38:39]
	v_fma_f64 v[22:23], v[12:13], s[14:15], v[68:69]
	v_fma_f64 v[42:43], v[20:21], s[14:15], v[6:7]
	;; [unrolled: 1-line block ×3, first 2 shown]
	s_mov_b32 s8, 0x4755a5e
	s_mov_b32 s9, 0xbfe2cf23
	;; [unrolled: 1-line block ×4, first 2 shown]
	v_add_f64 v[36:37], v[38:39], v[36:37]
	v_fma_f64 v[38:39], v[20:21], s[8:9], v[40:41]
	v_fma_f64 v[20:21], v[20:21], s[18:19], v[22:23]
	;; [unrolled: 1-line block ×3, first 2 shown]
	v_add_f64 v[10:11], v[14:15], v[10:11]
	v_fma_f64 v[6:7], v[12:13], s[18:19], v[6:7]
	v_add_f64 v[2:3], v[2:3], v[18:19]
	v_add_f64 v[18:19], v[136:137], v[138:139]
	v_mul_f64 v[14:15], v[122:123], s[8:9]
	s_mov_b32 s22, 0x9b97f4a8
	s_mov_b32 s23, 0x3fe9e377
	v_mul_f64 v[8:9], v[8:9], s[6:7]
	v_fma_f64 v[122:123], v[10:11], s[16:17], v[22:23]
	v_fma_f64 v[10:11], v[10:11], s[16:17], v[6:7]
	v_add_f64 v[6:7], v[62:63], v[74:75]
	v_add_f64 v[2:3], v[2:3], v[26:27]
	v_fma_f64 v[12:13], v[18:19], s[16:17], v[38:39]
	v_fma_f64 v[68:69], v[18:19], s[16:17], v[20:21]
	v_mul_f64 v[18:19], v[24:25], s[16:17]
	v_mul_f64 v[20:21], v[118:119], s[22:23]
	v_add_f64 v[22:23], v[46:47], v[50:51]
	v_add_f64 v[24:25], v[48:49], -v[76:77]
	v_fma_f64 v[6:7], v[6:7], -0.5, v[46:47]
	v_add_f64 v[2:3], v[2:3], v[30:31]
	v_fma_f64 v[8:9], v[16:17], s[16:17], v[8:9]
	v_add_f64 v[26:27], v[78:79], -v[74:75]
	v_fma_f64 v[0:1], v[0:1], s[6:7], -v[18:19]
	v_fma_f64 v[30:31], v[4:5], s[8:9], -v[20:21]
	v_add_f64 v[4:5], v[50:51], v[78:79]
	v_add_f64 v[16:17], v[22:23], v[62:63]
	v_fma_f64 v[18:19], v[24:25], s[6:7], v[6:7]
	v_add_f64 v[20:21], v[60:61], -v[72:73]
	v_add_f64 v[22:23], v[50:51], -v[62:63]
	v_add_f64 v[39:40], v[2:3], v[36:37]
	v_add_f64 v[48:49], v[36:37], -v[2:3]
	v_fma_f64 v[14:15], v[120:121], s[22:23], v[14:15]
	v_fma_f64 v[4:5], v[4:5], -0.5, v[46:47]
	v_add_f64 v[2:3], v[16:17], v[74:75]
	v_add_f64 v[50:51], v[62:63], -v[50:51]
	v_fma_f64 v[16:17], v[20:21], s[8:9], v[18:19]
	v_add_f64 v[18:19], v[22:23], v[26:27]
	v_add_f64 v[26:27], v[34:35], v[54:55]
	v_fma_f64 v[22:23], v[24:25], s[14:15], v[6:7]
	v_add_f64 v[54:55], v[74:75], -v[78:79]
	v_fma_f64 v[36:37], v[20:21], s[14:15], v[4:5]
	v_fma_f64 v[60:61], v[20:21], s[6:7], v[4:5]
	v_add_f64 v[6:7], v[78:79], v[2:3]
	v_add_f64 v[41:42], v[12:13], v[14:15]
	v_add_f64 v[34:35], v[12:13], -v[14:15]
	v_add_f64 v[2:3], v[26:27], v[58:59]
	v_fma_f64 v[12:13], v[20:21], s[18:19], v[22:23]
	v_add_f64 v[20:21], v[50:51], v[54:55]
	v_fma_f64 v[14:15], v[24:25], s[8:9], v[36:37]
	v_fma_f64 v[22:23], v[24:25], s[18:19], v[60:61]
	v_mul_f64 v[24:25], v[130:131], s[6:7]
	v_mul_f64 v[26:27], v[128:129], s[16:17]
	;; [unrolled: 1-line block ×3, first 2 shown]
	v_add_f64 v[2:3], v[66:67], v[2:3]
	v_mul_f64 v[50:51], v[126:127], s[8:9]
	v_fma_f64 v[4:5], v[18:19], s[16:17], v[16:17]
	v_fma_f64 v[16:17], v[18:19], s[16:17], v[12:13]
	;; [unrolled: 1-line block ×5, first 2 shown]
	v_fma_f64 v[22:23], v[52:53], s[6:7], -v[26:27]
	v_fma_f64 v[20:21], v[28:29], s[8:9], -v[36:37]
	v_add_f64 v[26:27], v[70:71], v[2:3]
	v_fma_f64 v[24:25], v[64:65], s[22:23], v[50:51]
	v_add_f64 v[118:119], v[122:123], v[8:9]
	v_add_f64 v[120:121], v[10:11], v[0:1]
	v_add_f64 v[36:37], v[122:123], -v[8:9]
	v_add_f64 v[28:29], v[10:11], -v[0:1]
	v_add_f64 v[0:1], v[14:15], v[54:55]
	v_add_f64 v[2:3], v[18:19], v[22:23]
	;; [unrolled: 1-line block ×3, first 2 shown]
	v_add_f64 v[10:11], v[6:7], -v[26:27]
	v_add_f64 v[12:13], v[4:5], -v[24:25]
	;; [unrolled: 1-line block ×3, first 2 shown]
	v_add_f64 v[46:47], v[68:69], v[30:31]
	v_add_f64 v[30:31], v[68:69], -v[30:31]
	v_add_u32_e32 v38, 0x78, v112
	s_waitcnt lgkmcnt(0)
	s_barrier
	ds_write_b128 v135, v[39:42]
	ds_write_b128 v135, v[118:121] offset:16
	ds_write_b128 v135, v[46:49] offset:32
	;; [unrolled: 1-line block ×4, first 2 shown]
	s_and_saveexec_b64 s[6:7], s[2:3]
	s_cbranch_execz .LBB0_21
; %bb.20:
	v_add_f64 v[26:27], v[6:7], v[26:27]
	v_add_f64 v[28:29], v[4:5], v[24:25]
	v_add_f64 v[4:5], v[18:19], -v[22:23]
	v_add_f64 v[6:7], v[16:17], -v[20:21]
	v_mul_u32_u24_e32 v16, 10, v38
	v_lshlrev_b32_e32 v16, 3, v16
	v_add3_u32 v16, 0, v16, v113
	ds_write_b128 v16, v[0:3] offset:16
	ds_write_b128 v16, v[26:29]
	ds_write_b128 v16, v[8:11] offset:32
	ds_write_b128 v16, v[12:15] offset:48
	;; [unrolled: 1-line block ×3, first 2 shown]
.LBB0_21:
	s_or_b64 exec, exec, s[6:7]
	v_add_u32_e32 v4, 0x300, v133
	v_add_u32_e32 v16, 0xd00, v133
	;; [unrolled: 1-line block ×5, first 2 shown]
	s_waitcnt lgkmcnt(0)
	s_barrier
	ds_read2_b64 v[4:7], v4 offset0:24 offset1:224
	ds_read2_b64 v[16:19], v16 offset0:24 offset1:224
	;; [unrolled: 1-line block ×5, first 2 shown]
	ds_read_b64 v[34:35], v132
	ds_read_b64 v[36:37], v133 offset:13760
	s_and_saveexec_b64 s[2:3], s[0:1]
	s_cbranch_execz .LBB0_23
; %bb.22:
	v_add_u32_e32 v12, 0x180, v133
	ds_read2st64_b64 v[0:3], v12 offset0:3 offset1:8
	ds_read2st64_b64 v[8:11], v12 offset0:13 offset1:18
	;; [unrolled: 1-line block ×3, first 2 shown]
.LBB0_23:
	s_or_b64 exec, exec, s[2:3]
	s_movk_i32 s2, 0xcd
	v_mul_lo_u16_sdwa v39, v112, s2 dst_sel:DWORD dst_unused:UNUSED_PAD src0_sel:BYTE_0 src1_sel:DWORD
	v_lshrrev_b16_e32 v175, 11, v39
	v_mul_lo_u16_e32 v39, 10, v175
	v_sub_u16_e32 v176, v112, v39
	v_mov_b32_e32 v58, 5
	v_mul_u32_u24_sdwa v39, v176, v58 dst_sel:DWORD dst_unused:UNUSED_PAD src0_sel:BYTE_0 src1_sel:DWORD
	v_lshlrev_b32_e32 v59, 4, v39
	global_load_dwordx4 v[39:42], v59, s[12:13] offset:48
	global_load_dwordx4 v[46:49], v59, s[12:13] offset:32
	;; [unrolled: 1-line block ×3, first 2 shown]
	global_load_dwordx4 v[54:57], v59, s[12:13]
	global_load_dwordx4 v[62:65], v59, s[12:13] offset:64
	v_mul_lo_u16_sdwa v59, v38, s2 dst_sel:DWORD dst_unused:UNUSED_PAD src0_sel:BYTE_0 src1_sel:DWORD
	v_lshrrev_b16_e32 v177, 11, v59
	v_mul_lo_u16_e32 v59, 10, v177
	v_sub_u16_e32 v178, v38, v59
	v_mul_u32_u24_sdwa v38, v178, v58 dst_sel:DWORD dst_unused:UNUSED_PAD src0_sel:BYTE_0 src1_sel:DWORD
	v_add_u32_e32 v43, 0xf0, v112
	v_lshlrev_b32_e32 v38, 4, v38
	s_mov_b32 s2, 0xcccd
	global_load_dwordx4 v[66:69], v38, s[12:13] offset:32
	global_load_dwordx4 v[70:73], v38, s[12:13] offset:16
	global_load_dwordx4 v[74:77], v38, s[12:13]
	global_load_dwordx4 v[118:121], v38, s[12:13] offset:48
	global_load_dwordx4 v[122:125], v38, s[12:13] offset:64
	v_mul_u32_u24_sdwa v38, v43, s2 dst_sel:DWORD dst_unused:UNUSED_PAD src0_sel:WORD_0 src1_sel:DWORD
	v_lshrrev_b32_e32 v179, 19, v38
	v_mul_lo_u16_e32 v38, 10, v179
	v_sub_u16_e32 v180, v43, v38
	v_mul_u32_u24_e32 v38, 5, v180
	v_lshlrev_b32_e32 v38, 4, v38
	global_load_dwordx4 v[126:129], v38, s[12:13]
	global_load_dwordx4 v[135:138], v38, s[12:13] offset:16
	global_load_dwordx4 v[139:142], v38, s[12:13] offset:32
	;; [unrolled: 1-line block ×4, first 2 shown]
	s_mov_b32 s2, 0xe8584caa
	s_mov_b32 s3, 0x3febb67a
	;; [unrolled: 1-line block ×4, first 2 shown]
	s_movk_i32 s8, 0x1e0
	s_waitcnt vmcnt(0) lgkmcnt(0)
	s_barrier
	v_mul_f64 v[151:152], v[26:27], v[41:42]
	v_mul_f64 v[130:131], v[22:23], v[48:49]
	;; [unrolled: 1-line block ×12, first 2 shown]
	v_fma_f64 v[52:53], v[6:7], v[54:55], v[56:57]
	v_fma_f64 v[56:57], v[22:23], v[46:47], v[48:49]
	;; [unrolled: 1-line block ×3, first 2 shown]
	v_mul_f64 v[76:77], v[96:97], v[76:77]
	v_mul_f64 v[165:166], v[2:3], v[128:129]
	;; [unrolled: 1-line block ×12, first 2 shown]
	v_fma_f64 v[94:95], v[94:95], v[54:55], -v[58:59]
	v_fma_f64 v[54:55], v[98:99], v[50:51], -v[60:61]
	v_fma_f64 v[60:61], v[18:19], v[50:51], v[78:79]
	v_fma_f64 v[78:79], v[102:103], v[46:47], -v[130:131]
	v_fma_f64 v[58:59], v[106:107], v[39:40], -v[151:152]
	v_fma_f64 v[22:23], v[26:27], v[39:40], v[41:42]
	v_fma_f64 v[98:99], v[110:111], v[62:63], -v[153:154]
	v_fma_f64 v[38:39], v[2:3], v[126:127], v[128:129]
	v_add_f64 v[2:3], v[56:57], v[48:49]
	v_mul_f64 v[169:170], v[10:11], v[141:142]
	v_mul_f64 v[141:142], v[86:87], v[141:142]
	;; [unrolled: 1-line block ×6, first 2 shown]
	v_fma_f64 v[62:63], v[96:97], v[74:75], -v[155:156]
	v_fma_f64 v[18:19], v[16:17], v[74:75], v[76:77]
	v_fma_f64 v[50:51], v[20:21], v[70:71], v[72:73]
	v_fma_f64 v[64:65], v[104:105], v[66:67], -v[159:160]
	v_fma_f64 v[20:21], v[24:25], v[66:67], v[68:69]
	v_fma_f64 v[16:17], v[28:29], v[118:119], v[120:121]
	v_fma_f64 v[66:67], v[44:45], v[122:123], -v[163:164]
	v_fma_f64 v[6:7], v[36:37], v[122:123], v[124:125]
	v_fma_f64 v[28:29], v[82:83], v[126:127], -v[165:166]
	v_fma_f64 v[44:45], v[8:9], v[135:136], v[137:138]
	v_add_f64 v[8:9], v[78:79], v[98:99]
	v_add_f64 v[74:75], v[94:95], v[78:79]
	v_add_f64 v[78:79], v[78:79], -v[98:99]
	v_fma_f64 v[82:83], v[2:3], -0.5, v[52:53]
	v_fma_f64 v[26:27], v[100:101], v[70:71], -v[157:158]
	v_fma_f64 v[24:25], v[108:109], v[118:119], -v[161:162]
	v_fma_f64 v[40:41], v[10:11], v[139:140], v[141:142]
	v_fma_f64 v[30:31], v[12:13], v[143:144], v[145:146]
	v_fma_f64 v[36:37], v[14:15], v[147:148], v[149:150]
	v_add_f64 v[10:11], v[32:33], v[54:55]
	v_add_f64 v[12:13], v[54:55], v[58:59]
	v_add_f64 v[14:15], v[56:57], -v[48:49]
	v_fma_f64 v[76:77], v[8:9], -0.5, v[94:95]
	v_add_f64 v[94:95], v[64:65], v[66:67]
	v_fma_f64 v[8:9], v[78:79], s[6:7], v[82:83]
	v_add_f64 v[100:101], v[20:21], v[6:7]
	v_fma_f64 v[72:73], v[86:87], v[139:140], -v[169:170]
	v_fma_f64 v[70:71], v[90:91], v[147:148], -v[173:174]
	v_add_f64 v[68:69], v[60:61], -v[22:23]
	v_add_f64 v[86:87], v[26:27], v[24:25]
	v_add_f64 v[90:91], v[62:63], v[64:65]
	v_add_f64 v[96:97], v[20:21], -v[6:7]
	v_fma_f64 v[2:3], v[14:15], s[6:7], v[76:77]
	v_add_f64 v[64:65], v[64:65], -v[66:67]
	v_add_f64 v[102:103], v[10:11], v[58:59]
	v_fma_f64 v[10:11], v[12:13], -0.5, v[32:33]
	v_fma_f64 v[76:77], v[14:15], s[2:3], v[76:77]
	v_fma_f64 v[14:15], v[78:79], s[2:3], v[82:83]
	v_mul_f64 v[12:13], v[8:9], s[2:3]
	v_fma_f64 v[78:79], v[100:101], -0.5, v[18:19]
	v_fma_f64 v[62:63], v[94:95], -0.5, v[62:63]
	v_fma_f64 v[42:43], v[84:85], v[135:136], -v[167:168]
	v_add_f64 v[84:85], v[92:93], v[26:27]
	v_mul_f64 v[32:33], v[2:3], -0.5
	v_add_f64 v[74:75], v[74:75], v[98:99]
	v_fma_f64 v[82:83], v[86:87], -0.5, v[92:93]
	v_fma_f64 v[86:87], v[68:69], s[2:3], v[10:11]
	v_fma_f64 v[68:69], v[68:69], s[6:7], v[10:11]
	v_fma_f64 v[92:93], v[76:77], 0.5, v[12:13]
	v_fma_f64 v[12:13], v[64:65], s[6:7], v[78:79]
	v_fma_f64 v[10:11], v[96:97], s[6:7], v[62:63]
	v_fma_f64 v[46:47], v[88:89], v[143:144], -v[171:172]
	v_add_f64 v[88:89], v[50:51], -v[16:17]
	v_fma_f64 v[94:95], v[14:15], s[2:3], v[32:33]
	v_add_f64 v[98:99], v[102:103], v[74:75]
	v_add_f64 v[100:101], v[102:103], -v[74:75]
	v_fma_f64 v[74:75], v[96:97], s[2:3], v[62:63]
	v_fma_f64 v[32:33], v[64:65], s[2:3], v[78:79]
	v_mul_f64 v[62:63], v[12:13], s[2:3]
	v_mul_f64 v[64:65], v[10:11], -0.5
	v_add_f64 v[66:67], v[90:91], v[66:67]
	v_add_f64 v[90:91], v[72:73], v[70:71]
	;; [unrolled: 1-line block ×5, first 2 shown]
	v_add_f64 v[86:87], v[86:87], -v[92:93]
	v_add_f64 v[84:85], v[84:85], v[24:25]
	v_fma_f64 v[92:93], v[88:89], s[2:3], v[82:83]
	v_fma_f64 v[82:83], v[88:89], s[6:7], v[82:83]
	v_fma_f64 v[62:63], v[74:75], 0.5, v[62:63]
	v_fma_f64 v[64:65], v[32:33], s[2:3], v[64:65]
	v_add_f64 v[88:89], v[68:69], -v[94:95]
	v_fma_f64 v[68:69], v[90:91], -0.5, v[28:29]
	v_add_f64 v[90:91], v[40:41], -v[36:37]
	v_fma_f64 v[102:103], v[102:103], -0.5, v[38:39]
	v_add_f64 v[104:105], v[72:73], -v[70:71]
	v_add_f64 v[94:95], v[84:85], v[66:67]
	v_add_f64 v[106:107], v[92:93], v[62:63]
	;; [unrolled: 1-line block ×3, first 2 shown]
	v_add_f64 v[84:85], v[84:85], -v[66:67]
	v_add_f64 v[92:93], v[92:93], -v[62:63]
	v_add_f64 v[110:111], v[82:83], -v[64:65]
	v_fma_f64 v[66:67], v[90:91], s[2:3], v[68:69]
	v_fma_f64 v[62:63], v[90:91], s[6:7], v[68:69]
	;; [unrolled: 1-line block ×4, first 2 shown]
	v_mov_b32_e32 v83, 3
	v_mad_u32_u24 v82, v175, s8, 0
	v_lshlrev_b32_sdwa v90, v83, v176 dst_sel:DWORD dst_unused:UNUSED_PAD src0_sel:DWORD src1_sel:BYTE_0
	v_add3_u32 v82, v82, v90, v113
	ds_write2_b64 v82, v[98:99], v[78:79] offset1:10
	ds_write2_b64 v82, v[96:97], v[100:101] offset0:20 offset1:30
	ds_write2_b64 v82, v[86:87], v[88:89] offset0:40 offset1:50
	v_mad_u32_u24 v78, v177, s8, 0
	v_lshlrev_b32_sdwa v79, v83, v178 dst_sel:DWORD dst_unused:UNUSED_PAD src0_sel:DWORD src1_sel:BYTE_0
	v_add3_u32 v83, v78, v79, v113
	v_mul_lo_u16_e32 v78, 60, v179
	v_lshl_add_u32 v79, v180, 3, 0
	ds_write2_b64 v83, v[94:95], v[106:107] offset1:10
	ds_write2_b64 v83, v[108:109], v[84:85] offset0:20 offset1:30
	ds_write2_b64 v83, v[92:93], v[110:111] offset0:40 offset1:50
	s_and_saveexec_b64 s[8:9], s[0:1]
	s_cbranch_execz .LBB0_25
; %bb.24:
	v_add_f64 v[84:85], v[42:43], v[46:47]
	v_add_f64 v[86:87], v[44:45], -v[30:31]
	v_mul_f64 v[88:89], v[62:63], -0.5
	v_add_f64 v[90:91], v[80:81], v[42:43]
	v_add_f64 v[28:29], v[28:29], v[72:73]
	v_mul_f64 v[72:73], v[64:65], s[2:3]
	v_fma_f64 v[80:81], v[84:85], -0.5, v[80:81]
	v_fma_f64 v[84:85], v[68:69], s[2:3], v[88:89]
	v_add_f64 v[88:89], v[90:91], v[46:47]
	v_add_f64 v[28:29], v[28:29], v[70:71]
	v_fma_f64 v[70:71], v[66:67], 0.5, v[72:73]
	v_fma_f64 v[72:73], v[86:87], s[6:7], v[80:81]
	v_fma_f64 v[80:81], v[86:87], s[2:3], v[80:81]
	v_add_f64 v[86:87], v[88:89], -v[28:29]
	v_add_f64 v[28:29], v[88:89], v[28:29]
	v_add_f64 v[88:89], v[72:73], -v[84:85]
	v_add_f64 v[90:91], v[80:81], v[70:71]
	v_add_f64 v[72:73], v[72:73], v[84:85]
	v_add_f64 v[70:71], v[80:81], -v[70:71]
	v_lshlrev_b32_e32 v80, 3, v78
	v_add3_u32 v80, v79, v80, v113
	ds_write2_b64 v80, v[28:29], v[90:91] offset1:10
	ds_write2_b64 v80, v[72:73], v[86:87] offset0:20 offset1:30
	ds_write2_b64 v80, v[70:71], v[88:89] offset0:40 offset1:50
.LBB0_25:
	s_or_b64 exec, exec, s[8:9]
	v_add_f64 v[28:29], v[60:61], v[22:23]
	v_add_f64 v[52:53], v[52:53], v[56:57]
	v_add_f64 v[54:55], v[54:55], -v[58:59]
	v_add_f64 v[58:59], v[50:51], v[16:17]
	v_add_f64 v[60:61], v[34:35], v[60:61]
	v_mul_f64 v[56:57], v[76:77], s[6:7]
	v_mul_f64 v[14:15], v[14:15], -0.5
	v_add_f64 v[24:25], v[26:27], -v[24:25]
	v_fma_f64 v[28:29], v[28:29], -0.5, v[34:35]
	v_add_f64 v[34:35], v[52:53], v[48:49]
	v_add_f64 v[48:49], v[4:5], v[50:51]
	;; [unrolled: 1-line block ×3, first 2 shown]
	v_fma_f64 v[4:5], v[58:59], -0.5, v[4:5]
	v_mul_f64 v[32:33], v[32:33], -0.5
	v_add_f64 v[22:23], v[60:61], v[22:23]
	v_fma_f64 v[8:9], v[8:9], 0.5, v[56:57]
	v_fma_f64 v[20:21], v[54:55], s[6:7], v[28:29]
	v_fma_f64 v[26:27], v[54:55], s[2:3], v[28:29]
	v_mul_f64 v[28:29], v[74:75], s[6:7]
	v_fma_f64 v[2:3], v[2:3], s[6:7], v[14:15]
	v_add_f64 v[14:15], v[48:49], v[16:17]
	v_fma_f64 v[16:17], v[24:25], s[6:7], v[4:5]
	v_fma_f64 v[4:5], v[24:25], s[2:3], v[4:5]
	v_add_f64 v[6:7], v[18:19], v[6:7]
	v_fma_f64 v[10:11], v[10:11], s[6:7], v[32:33]
	v_add_f64 v[58:59], v[22:23], v[34:35]
	v_fma_f64 v[12:13], v[12:13], 0.5, v[28:29]
	v_add_f64 v[56:57], v[20:21], v[8:9]
	v_add_f64 v[60:61], v[26:27], v[2:3]
	v_add_f64 v[70:71], v[22:23], -v[34:35]
	v_add3_u32 v48, 0, v134, v113
	v_add_f64 v[72:73], v[20:21], -v[8:9]
	v_add_f64 v[74:75], v[26:27], -v[2:3]
	v_add_u32_e32 v49, 0x400, v48
	v_add_u32_e32 v50, 0xc00, v48
	;; [unrolled: 1-line block ×7, first 2 shown]
	v_add_f64 v[76:77], v[14:15], v[6:7]
	v_add_f64 v[80:81], v[16:17], v[12:13]
	;; [unrolled: 1-line block ×3, first 2 shown]
	v_add_f64 v[86:87], v[14:15], -v[6:7]
	v_add_f64 v[88:89], v[16:17], -v[12:13]
	;; [unrolled: 1-line block ×3, first 2 shown]
	s_waitcnt lgkmcnt(0)
	s_barrier
	ds_read_b64 v[32:33], v132
	ds_read_b64 v[34:35], v133 offset:960
	ds_read2_b64 v[26:29], v49 offset0:112 offset1:232
	ds_read2_b64 v[22:25], v50 offset0:96 offset1:216
	;; [unrolled: 1-line block ×7, first 2 shown]
	s_waitcnt lgkmcnt(0)
	s_barrier
	ds_write2_b64 v82, v[58:59], v[56:57] offset1:10
	ds_write2_b64 v82, v[60:61], v[70:71] offset0:20 offset1:30
	ds_write2_b64 v82, v[72:73], v[74:75] offset0:40 offset1:50
	ds_write2_b64 v83, v[76:77], v[80:81] offset1:10
	ds_write2_b64 v83, v[84:85], v[86:87] offset0:20 offset1:30
	ds_write2_b64 v83, v[88:89], v[90:91] offset0:40 offset1:50
	s_and_saveexec_b64 s[2:3], s[0:1]
	s_cbranch_execz .LBB0_27
; %bb.26:
	v_add_f64 v[56:57], v[44:45], v[30:31]
	s_mov_b32 s0, 0xe8584caa
	s_mov_b32 s1, 0xbfebb67a
	v_add_f64 v[44:45], v[0:1], v[44:45]
	v_add_f64 v[42:43], v[42:43], -v[46:47]
	v_add_f64 v[38:39], v[38:39], v[40:41]
	v_mul_f64 v[40:41], v[68:69], -0.5
	v_mul_f64 v[46:47], v[66:67], s[0:1]
	v_fma_f64 v[0:1], v[56:57], -0.5, v[0:1]
	s_mov_b32 s7, 0x3febb67a
	s_mov_b32 s6, s0
	v_add_f64 v[30:31], v[44:45], v[30:31]
	v_add_f64 v[36:37], v[38:39], v[36:37]
	v_fma_f64 v[38:39], v[62:63], s[0:1], v[40:41]
	v_fma_f64 v[40:41], v[64:65], 0.5, v[46:47]
	v_fma_f64 v[44:45], v[42:43], s[0:1], v[0:1]
	v_fma_f64 v[0:1], v[42:43], s[6:7], v[0:1]
	v_add_f64 v[42:43], v[30:31], v[36:37]
	v_add_f64 v[30:31], v[30:31], -v[36:37]
	v_add_f64 v[36:37], v[44:45], v[40:41]
	v_add_f64 v[46:47], v[0:1], v[38:39]
	v_add_f64 v[40:41], v[44:45], -v[40:41]
	v_add_f64 v[0:1], v[0:1], -v[38:39]
	v_lshlrev_b32_e32 v38, 3, v78
	v_add3_u32 v38, v79, v38, v113
	ds_write2_b64 v38, v[42:43], v[36:37] offset1:10
	ds_write2_b64 v38, v[46:47], v[30:31] offset0:20 offset1:30
	ds_write2_b64 v38, v[40:41], v[0:1] offset0:40 offset1:50
.LBB0_27:
	s_or_b64 exec, exec, s[2:3]
	v_subrev_u32_e32 v0, 60, v112
	v_cmp_gt_u32_e64 s[0:1], 60, v112
	v_cndmask_b32_e64 v0, v0, v112, s[0:1]
	v_mul_i32_i24_e32 v30, 15, v0
	v_mov_b32_e32 v31, 0
	v_lshlrev_b64 v[36:37], 4, v[30:31]
	v_mov_b32_e32 v1, s13
	v_add_co_u32_e64 v104, s[0:1], s12, v36
	v_addc_co_u32_e64 v105, s[0:1], v1, v37, s[0:1]
	s_waitcnt lgkmcnt(0)
	s_barrier
	global_load_dwordx4 v[36:39], v[104:105], off offset:800
	global_load_dwordx4 v[40:43], v[104:105], off offset:816
	;; [unrolled: 1-line block ×15, first 2 shown]
	ds_read_b64 v[130:131], v132
	ds_read_b64 v[142:143], v133 offset:960
	ds_read2_b64 v[104:107], v49 offset0:112 offset1:232
	ds_read2_b64 v[108:111], v50 offset0:96 offset1:216
	;; [unrolled: 1-line block ×7, first 2 shown]
	s_mov_b32 s0, 0x667f3bcd
	s_mov_b32 s1, 0xbfe6a09e
	;; [unrolled: 1-line block ×12, first 2 shown]
	s_waitcnt vmcnt(0) lgkmcnt(0)
	s_barrier
	v_mul_f64 v[144:145], v[142:143], v[38:39]
	v_mul_f64 v[38:39], v[34:35], v[38:39]
	;; [unrolled: 1-line block ×28, first 2 shown]
	v_fma_f64 v[34:35], v[34:35], v[36:37], -v[144:145]
	v_fma_f64 v[36:37], v[142:143], v[36:37], v[38:39]
	v_fma_f64 v[26:27], v[26:27], v[40:41], -v[146:147]
	v_fma_f64 v[38:39], v[104:105], v[40:41], v[42:43]
	v_fma_f64 v[40:41], v[106:107], v[44:45], v[46:47]
	v_fma_f64 v[22:23], v[22:23], v[56:57], -v[150:151]
	v_fma_f64 v[42:43], v[108:109], v[56:57], v[58:59]
	v_fma_f64 v[46:47], v[118:119], v[64:65], v[66:67]
	;; [unrolled: 1-line block ×3, first 2 shown]
	v_fma_f64 v[14:15], v[14:15], v[72:73], -v[158:159]
	v_fma_f64 v[10:11], v[10:11], v[80:81], -v[162:163]
	v_fma_f64 v[66:67], v[134:135], v[88:89], v[90:91]
	v_fma_f64 v[70:71], v[138:139], v[96:97], v[98:99]
	v_mul_f64 v[78:79], v[16:17], v[78:79]
	v_mul_f64 v[86:87], v[12:13], v[86:87]
	v_fma_f64 v[28:29], v[28:29], v[44:45], -v[148:149]
	v_fma_f64 v[44:45], v[110:111], v[60:61], v[62:63]
	v_fma_f64 v[18:19], v[18:19], v[64:65], -v[154:155]
	v_fma_f64 v[20:21], v[20:21], v[68:69], -v[156:157]
	v_fma_f64 v[58:59], v[122:123], v[72:73], v[74:75]
	v_fma_f64 v[16:17], v[16:17], v[76:77], -v[160:161]
	v_fma_f64 v[62:63], v[126:127], v[80:81], v[82:83]
	v_fma_f64 v[12:13], v[12:13], v[84:85], -v[164:165]
	v_fma_f64 v[6:7], v[6:7], v[88:89], -v[166:167]
	v_fma_f64 v[68:69], v[136:137], v[92:93], v[94:95]
	v_fma_f64 v[1:2], v[2:3], v[96:97], -v[170:171]
	v_fma_f64 v[72:73], v[140:141], v[100:101], v[102:103]
	v_add_f64 v[14:15], v[32:33], -v[14:15]
	v_add_f64 v[66:67], v[42:43], -v[66:67]
	;; [unrolled: 1-line block ×4, first 2 shown]
	v_fma_f64 v[24:25], v[24:25], v[60:61], -v[152:153]
	v_fma_f64 v[60:61], v[124:125], v[76:77], v[78:79]
	v_fma_f64 v[64:65], v[128:129], v[84:85], v[86:87]
	v_fma_f64 v[8:9], v[8:9], v[92:93], -v[168:169]
	v_fma_f64 v[3:4], v[4:5], v[100:101], -v[172:173]
	v_add_f64 v[58:59], v[130:131], -v[58:59]
	v_add_f64 v[5:6], v[22:23], -v[6:7]
	;; [unrolled: 1-line block ×4, first 2 shown]
	v_fma_f64 v[42:43], v[42:43], 2.0, -v[66:67]
	v_fma_f64 v[46:47], v[46:47], 2.0, -v[70:71]
	v_add_f64 v[16:17], v[34:35], -v[16:17]
	v_add_f64 v[68:69], v[44:45], -v[68:69]
	;; [unrolled: 1-line block ×6, first 2 shown]
	v_fma_f64 v[32:33], v[32:33], 2.0, -v[14:15]
	v_fma_f64 v[22:23], v[22:23], 2.0, -v[5:6]
	;; [unrolled: 1-line block ×4, first 2 shown]
	v_add_f64 v[60:61], v[36:37], -v[60:61]
	v_add_f64 v[7:8], v[24:25], -v[8:9]
	;; [unrolled: 1-line block ×4, first 2 shown]
	v_fma_f64 v[44:45], v[44:45], 2.0, -v[68:69]
	v_fma_f64 v[56:57], v[56:57], 2.0, -v[72:73]
	v_add_f64 v[5:6], v[58:59], v[5:6]
	v_add_f64 v[1:2], v[62:63], v[1:2]
	v_fma_f64 v[14:15], v[14:15], 2.0, -v[66:67]
	v_fma_f64 v[9:10], v[10:11], 2.0, -v[70:71]
	v_add_f64 v[68:69], v[16:17], -v[68:69]
	v_add_f64 v[72:73], v[12:13], -v[72:73]
	v_fma_f64 v[74:75], v[130:131], 2.0, -v[58:59]
	v_fma_f64 v[38:39], v[38:39], 2.0, -v[62:63]
	;; [unrolled: 1-line block ×8, first 2 shown]
	v_add_f64 v[7:8], v[60:61], v[7:8]
	v_add_f64 v[3:4], v[64:65], v[3:4]
	v_fma_f64 v[16:17], v[16:17], 2.0, -v[68:69]
	v_fma_f64 v[11:12], v[12:13], 2.0, -v[72:73]
	v_fma_f64 v[76:77], v[9:10], s[0:1], v[14:15]
	v_fma_f64 v[36:37], v[36:37], 2.0, -v[60:61]
	v_fma_f64 v[40:41], v[40:41], 2.0, -v[64:65]
	v_fma_f64 v[78:79], v[62:63], s[0:1], v[58:59]
	;; [unrolled: 3-line block ×3, first 2 shown]
	v_fma_f64 v[82:83], v[1:2], s[2:3], v[5:6]
	v_fma_f64 v[62:63], v[62:63], s[0:1], v[76:77]
	;; [unrolled: 1-line block ×3, first 2 shown]
	v_add_f64 v[22:23], v[32:33], -v[22:23]
	v_add_f64 v[18:19], v[26:27], -v[18:19]
	v_add_f64 v[24:25], v[34:35], -v[24:25]
	v_add_f64 v[20:21], v[28:29], -v[20:21]
	v_fma_f64 v[9:10], v[9:10], s[2:3], v[78:79]
	v_fma_f64 v[1:2], v[1:2], s[0:1], v[80:81]
	v_fma_f64 v[70:71], v[70:71], s[2:3], v[82:83]
	v_fma_f64 v[78:79], v[64:65], s[0:1], v[60:61]
	v_fma_f64 v[80:81], v[72:73], s[2:3], v[68:69]
	v_fma_f64 v[82:83], v[3:4], s[2:3], v[7:8]
	v_fma_f64 v[64:65], v[64:65], s[0:1], v[76:77]
	v_add_f64 v[42:43], v[74:75], -v[42:43]
	v_add_f64 v[46:47], v[38:39], -v[46:47]
	v_fma_f64 v[32:33], v[32:33], 2.0, -v[22:23]
	v_fma_f64 v[26:27], v[26:27], 2.0, -v[18:19]
	v_add_f64 v[44:45], v[36:37], -v[44:45]
	v_add_f64 v[56:57], v[40:41], -v[56:57]
	v_fma_f64 v[34:35], v[34:35], 2.0, -v[24:25]
	v_fma_f64 v[28:29], v[28:29], 2.0, -v[20:21]
	;; [unrolled: 1-line block ×3, first 2 shown]
	v_fma_f64 v[11:12], v[11:12], s[2:3], v[78:79]
	v_fma_f64 v[3:4], v[3:4], s[0:1], v[80:81]
	;; [unrolled: 1-line block ×3, first 2 shown]
	v_fma_f64 v[15:16], v[16:17], 2.0, -v[64:65]
	v_fma_f64 v[38:39], v[38:39], 2.0, -v[46:47]
	;; [unrolled: 1-line block ×3, first 2 shown]
	v_add_f64 v[26:27], v[32:33], -v[26:27]
	v_add_f64 v[46:47], v[22:23], -v[46:47]
	v_add_f64 v[18:19], v[42:43], v[18:19]
	v_fma_f64 v[58:59], v[58:59], 2.0, -v[9:10]
	v_fma_f64 v[66:67], v[66:67], 2.0, -v[1:2]
	;; [unrolled: 1-line block ×3, first 2 shown]
	v_add_f64 v[28:29], v[34:35], -v[28:29]
	v_add_f64 v[56:57], v[24:25], -v[56:57]
	v_add_f64 v[20:21], v[44:45], v[20:21]
	v_fma_f64 v[60:61], v[60:61], 2.0, -v[11:12]
	v_fma_f64 v[68:69], v[68:69], 2.0, -v[3:4]
	;; [unrolled: 1-line block ×3, first 2 shown]
	v_fma_f64 v[76:77], v[15:16], s[6:7], v[13:14]
	v_fma_f64 v[74:75], v[74:75], 2.0, -v[42:43]
	v_fma_f64 v[36:37], v[36:37], 2.0, -v[44:45]
	;; [unrolled: 1-line block ×8, first 2 shown]
	v_fma_f64 v[78:79], v[60:61], s[6:7], v[58:59]
	v_fma_f64 v[84:85], v[68:69], s[8:9], v[66:67]
	;; [unrolled: 1-line block ×4, first 2 shown]
	v_add_f64 v[40:41], v[36:37], -v[40:41]
	v_add_f64 v[34:35], v[32:33], -v[34:35]
	v_fma_f64 v[80:81], v[24:25], s[0:1], v[22:23]
	v_fma_f64 v[82:83], v[44:45], s[0:1], v[42:43]
	;; [unrolled: 1-line block ×7, first 2 shown]
	v_add_f64 v[38:39], v[74:75], -v[38:39]
	v_fma_f64 v[15:16], v[44:45], s[0:1], v[80:81]
	v_fma_f64 v[44:45], v[24:25], s[2:3], v[82:83]
	v_fma_f64 v[24:25], v[32:33], 2.0, -v[34:35]
	v_fma_f64 v[32:33], v[66:67], 2.0, -v[7:8]
	v_fma_f64 v[80:81], v[56:57], s[2:3], v[46:47]
	v_fma_f64 v[66:67], v[5:6], 2.0, -v[68:69]
	v_fma_f64 v[5:6], v[64:65], s[14:15], v[62:63]
	;; [unrolled: 2-line block ×3, first 2 shown]
	v_fma_f64 v[86:87], v[72:73], s[16:17], v[70:71]
	v_add_f64 v[40:41], v[26:27], -v[40:41]
	v_fma_f64 v[64:65], v[64:65], s[16:17], v[76:77]
	v_fma_f64 v[74:75], v[74:75], 2.0, -v[38:39]
	v_fma_f64 v[13:14], v[13:14], 2.0, -v[60:61]
	v_fma_f64 v[5:6], v[11:12], s[6:7], v[5:6]
	v_fma_f64 v[11:12], v[20:21], s[0:1], v[80:81]
	v_fma_f64 v[20:21], v[72:73], s[8:9], v[84:85]
	v_fma_f64 v[22:23], v[22:23], 2.0, -v[15:16]
	v_fma_f64 v[56:57], v[56:57], s[2:3], v[82:83]
	v_fma_f64 v[72:73], v[3:4], s[14:15], v[86:87]
	v_fma_f64 v[3:4], v[26:27], 2.0, -v[40:41]
	v_mov_b32_e32 v17, 0x3c0
	v_fma_f64 v[26:27], v[62:63], 2.0, -v[5:6]
	v_fma_f64 v[62:63], v[9:10], 2.0, -v[64:65]
	;; [unrolled: 1-line block ×4, first 2 shown]
	v_cmp_lt_u32_e64 s[0:1], 59, v112
	v_cndmask_b32_e64 v17, 0, v17, s[0:1]
	v_or_b32_e32 v0, v17, v0
	v_lshlrev_b32_e32 v0, 3, v0
	v_add_f64 v[36:37], v[74:75], -v[36:37]
	v_add3_u32 v30, 0, v0, v113
	v_add_u32_e32 v80, 0xc00, v30
	v_add_f64 v[88:89], v[38:39], v[28:29]
	ds_write2_b64 v30, v[24:25], v[13:14] offset1:60
	ds_write2_b64 v30, v[22:23], v[32:33] offset0:120 offset1:180
	ds_write2_b64 v80, v[34:35], v[60:61] offset0:96 offset1:156
	v_add_u32_e32 v35, 0x1400, v30
	v_add_u32_e32 v76, 0x400, v30
	;; [unrolled: 1-line block ×4, first 2 shown]
	ds_write2_b64 v35, v[40:41], v[5:6] offset0:80 offset1:140
	v_add_u32_e32 v40, 0x1800, v30
	v_fma_f64 v[46:47], v[18:19], 2.0, -v[56:57]
	ds_write2_b64 v76, v[3:4], v[26:27] offset0:112 offset1:172
	ds_write2_b64 v77, v[9:10], v[1:2] offset0:104 offset1:164
	;; [unrolled: 1-line block ×4, first 2 shown]
	s_waitcnt lgkmcnt(0)
	s_barrier
	ds_read2_b64 v[4:7], v55 offset0:64 offset1:184
	ds_read_b64 v[28:29], v132
	ds_read_b64 v[32:33], v133 offset:960
	ds_read2_b64 v[0:3], v49 offset0:112 offset1:232
	ds_read2_b64 v[8:11], v52 offset0:48 offset1:168
	;; [unrolled: 1-line block ×6, first 2 shown]
	v_fma_f64 v[74:75], v[74:75], 2.0, -v[36:37]
	v_fma_f64 v[58:59], v[58:59], 2.0, -v[78:79]
	;; [unrolled: 1-line block ×5, first 2 shown]
	s_waitcnt lgkmcnt(0)
	s_barrier
	ds_write2_b64 v30, v[74:75], v[58:59] offset1:60
	ds_write2_b64 v30, v[42:43], v[66:67] offset0:120 offset1:180
	ds_write2_b64 v76, v[38:39], v[62:63] offset0:112 offset1:172
	;; [unrolled: 1-line block ×7, first 2 shown]
	s_waitcnt lgkmcnt(0)
	s_barrier
	s_and_saveexec_b64 s[0:1], vcc
	s_cbranch_execz .LBB0_29
; %bb.28:
	v_add_u32_e32 v30, 0x348, v112
	v_lshlrev_b64 v[35:36], 4, v[30:31]
	v_mov_b32_e32 v57, s13
	v_add_co_u32_e32 v30, vcc, s12, v35
	v_addc_co_u32_e32 v35, vcc, v57, v36, vcc
	s_movk_i32 s0, 0x3000
	v_add_co_u32_e32 v43, vcc, s0, v30
	v_add_u32_e32 v34, 0x2d0, v112
	v_addc_co_u32_e32 v44, vcc, 0, v35, vcc
	v_mov_b32_e32 v35, v31
	v_lshlrev_b64 v[34:35], 4, v[34:35]
	v_add_u32_e32 v42, 0x258, v112
	v_add_co_u32_e32 v30, vcc, s12, v34
	v_addc_co_u32_e32 v34, vcc, v57, v35, vcc
	v_add_co_u32_e32 v50, vcc, s0, v30
	v_addc_co_u32_e32 v51, vcc, 0, v34, vcc
	global_load_dwordx4 v[34:37], v[43:44], off offset:2912
	global_load_dwordx4 v[38:41], v[50:51], off offset:2912
	v_mov_b32_e32 v43, v31
	v_lshlrev_b64 v[42:43], 4, v[42:43]
	v_add_u32_e32 v49, 0x1e0, v112
	v_add_co_u32_e32 v30, vcc, s12, v42
	v_addc_co_u32_e32 v43, vcc, v57, v43, vcc
	v_add_co_u32_e32 v42, vcc, s0, v30
	v_addc_co_u32_e32 v43, vcc, 0, v43, vcc
	global_load_dwordx4 v[42:45], v[42:43], off offset:2912
	v_mov_b32_e32 v50, v31
	v_lshlrev_b64 v[49:50], 4, v[49:50]
	v_add_u32_e32 v46, 0x168, v112
	v_add_co_u32_e32 v30, vcc, s12, v49
	v_addc_co_u32_e32 v47, vcc, v57, v50, vcc
	v_add_co_u32_e32 v49, vcc, s0, v30
	v_addc_co_u32_e32 v50, vcc, 0, v47, vcc
	global_load_dwordx4 v[49:52], v[49:50], off offset:2912
	v_mov_b32_e32 v47, v31
	v_lshlrev_b64 v[46:47], 4, v[46:47]
	v_mov_b32_e32 v113, v31
	v_add_co_u32_e32 v30, vcc, s12, v46
	v_addc_co_u32_e32 v47, vcc, v57, v47, vcc
	v_add_co_u32_e32 v46, vcc, s0, v30
	v_addc_co_u32_e32 v47, vcc, 0, v47, vcc
	global_load_dwordx4 v[53:56], v[46:47], off offset:2912
	v_lshlrev_b64 v[30:31], 4, v[112:113]
	s_movk_i32 s1, 0x4000
	v_add_co_u32_e32 v46, vcc, s12, v30
	v_addc_co_u32_e32 v47, vcc, v57, v31, vcc
	v_add_co_u32_e32 v30, vcc, s1, v46
	v_addc_co_u32_e32 v31, vcc, 0, v47, vcc
	global_load_dwordx4 v[57:60], v[30:31], off offset:2656
	global_load_dwordx4 v[61:64], v[30:31], off offset:736
	v_add_co_u32_e32 v30, vcc, s0, v46
	v_addc_co_u32_e32 v31, vcc, 0, v47, vcc
	global_load_dwordx4 v[65:68], v[30:31], off offset:2912
	v_add_u32_e32 v30, 0x3400, v48
	ds_read2_b64 v[69:72], v30 offset0:16 offset1:136
	v_add_u32_e32 v73, 0x1400, v48
	v_add_u32_e32 v74, 0xc00, v48
	;; [unrolled: 1-line block ×3, first 2 shown]
	v_mad_u64_u32 v[81:82], s[0:1], s4, v116, 0
	s_mov_b32 s0, 0x88888889
	v_mul_lo_u32 v85, s5, v116
	v_mul_lo_u32 v86, s4, v117
	s_movk_i32 s1, 0x780
	v_add3_u32 v82, v82, v86, v85
	s_waitcnt vmcnt(7)
	v_mul_f64 v[30:31], v[26:27], v[36:37]
	s_waitcnt lgkmcnt(0)
	v_mul_f64 v[36:37], v[71:72], v[36:37]
	s_waitcnt vmcnt(6)
	v_mul_f64 v[46:47], v[24:25], v[40:41]
	v_mul_f64 v[40:41], v[69:70], v[40:41]
	v_fma_f64 v[30:31], v[71:72], v[34:35], v[30:31]
	v_fma_f64 v[79:80], v[26:27], v[34:35], -v[36:37]
	ds_read2_b64 v[34:37], v73 offset0:80 offset1:200
	ds_read2_b64 v[71:74], v74 offset0:96 offset1:216
	;; [unrolled: 1-line block ×3, first 2 shown]
	v_fma_f64 v[46:47], v[69:70], v[38:39], v[46:47]
	v_fma_f64 v[38:39], v[24:25], v[38:39], -v[40:41]
	s_waitcnt vmcnt(5)
	v_mul_f64 v[83:84], v[18:19], v[44:45]
	s_waitcnt lgkmcnt(0)
	v_mul_f64 v[69:70], v[77:78], v[44:45]
	v_add_f64 v[26:27], v[36:37], -v[30:31]
	v_add_f64 v[24:25], v[22:23], -v[79:80]
	;; [unrolled: 1-line block ×4, first 2 shown]
	v_fma_f64 v[30:31], v[77:78], v[42:43], v[83:84]
	v_fma_f64 v[46:47], v[36:37], 2.0, -v[26:27]
	s_waitcnt vmcnt(4)
	v_mul_f64 v[83:84], v[16:17], v[51:52]
	v_fma_f64 v[44:45], v[22:23], 2.0, -v[24:25]
	v_fma_f64 v[36:37], v[34:35], 2.0, -v[40:41]
	;; [unrolled: 1-line block ×3, first 2 shown]
	v_add_f64 v[22:23], v[73:74], -v[30:31]
	v_fma_f64 v[30:31], v[18:19], v[42:43], -v[69:70]
	v_add_u32_e32 v18, 0x2400, v48
	ds_read2_b64 v[77:80], v18 offset0:48 offset1:168
	v_fma_f64 v[42:43], v[75:76], v[49:50], v[83:84]
	v_mul_f64 v[69:70], v[75:76], v[51:52]
	s_waitcnt vmcnt(3)
	v_mul_f64 v[75:76], v[10:11], v[55:56]
	s_waitcnt lgkmcnt(0)
	v_mul_f64 v[55:56], v[79:80], v[55:56]
	v_add_f64 v[20:21], v[14:15], -v[30:31]
	v_fma_f64 v[18:19], v[73:74], 2.0, -v[22:23]
	v_add_f64 v[51:52], v[71:72], -v[42:43]
	v_fma_f64 v[42:43], v[16:17], v[49:50], -v[69:70]
	v_add_u32_e32 v16, 0x400, v48
	v_mul_hi_u32 v48, v112, s0
	v_fma_f64 v[69:70], v[79:80], v[53:54], v[75:76]
	v_fma_f64 v[10:11], v[10:11], v[53:54], -v[55:56]
	s_waitcnt vmcnt(2)
	v_mul_f64 v[30:31], v[8:9], v[59:60]
	ds_read2_b64 v[53:56], v16 offset0:112 offset1:232
	v_fma_f64 v[16:17], v[14:15], 2.0, -v[20:21]
	v_fma_f64 v[14:15], v[71:72], 2.0, -v[51:52]
	v_add_f64 v[49:50], v[12:13], -v[42:43]
	v_mul_f64 v[42:43], v[77:78], v[59:60]
	s_waitcnt lgkmcnt(0)
	v_add_f64 v[71:72], v[55:56], -v[69:70]
	v_add_f64 v[69:70], v[2:3], -v[10:11]
	v_fma_f64 v[30:31], v[77:78], v[57:58], v[30:31]
	v_add_u32_e32 v10, 0x1c00, v133
	ds_read2_b64 v[73:76], v10 offset0:64 offset1:184
	s_waitcnt vmcnt(1)
	v_mul_f64 v[77:78], v[6:7], v[63:64]
	v_fma_f64 v[12:13], v[12:13], 2.0, -v[49:50]
	v_fma_f64 v[8:9], v[8:9], v[57:58], -v[42:43]
	v_fma_f64 v[59:60], v[55:56], 2.0, -v[71:72]
	s_waitcnt vmcnt(0)
	v_mul_f64 v[55:56], v[4:5], v[67:68]
	v_add_f64 v[10:11], v[53:54], -v[30:31]
	s_waitcnt lgkmcnt(0)
	v_mul_f64 v[30:31], v[75:76], v[63:64]
	v_fma_f64 v[57:58], v[2:3], 2.0, -v[69:70]
	v_fma_f64 v[42:43], v[75:76], v[61:62], v[77:78]
	ds_read_b64 v[63:64], v133 offset:960
	v_add_f64 v[8:9], v[0:1], -v[8:9]
	v_fma_f64 v[55:56], v[73:74], v[65:66], v[55:56]
	v_fma_f64 v[2:3], v[53:54], 2.0, -v[10:11]
	v_mul_f64 v[53:54], v[73:74], v[67:68]
	ds_read_b64 v[67:68], v132
	v_fma_f64 v[30:31], v[6:7], v[61:62], -v[30:31]
	s_waitcnt lgkmcnt(1)
	v_add_f64 v[6:7], v[63:64], -v[42:43]
	v_fma_f64 v[0:1], v[0:1], 2.0, -v[8:9]
	s_waitcnt lgkmcnt(0)
	v_add_f64 v[55:56], v[67:68], -v[55:56]
	v_fma_f64 v[42:43], v[4:5], v[65:66], -v[53:54]
	v_add_f64 v[4:5], v[32:33], -v[30:31]
	v_lshrrev_b32_e32 v30, 9, v48
	v_mul_u32_u24_e32 v30, 0x3c0, v30
	v_sub_u32_e32 v48, v112, v30
	v_mad_u64_u32 v[65:66], s[2:3], s20, v48, 0
	v_add_f64 v[53:54], v[28:29], -v[42:43]
	v_fma_f64 v[63:64], v[63:64], 2.0, -v[6:7]
	v_mov_b32_e32 v30, v66
	v_mad_u64_u32 v[42:43], s[2:3], s21, v48, v[30:31]
	v_fma_f64 v[61:62], v[32:33], 2.0, -v[4:5]
	v_lshlrev_b64 v[32:33], 4, v[81:82]
	v_mov_b32_e32 v66, v42
	v_mov_b32_e32 v42, s11
	v_add_co_u32_e32 v43, vcc, s10, v32
	v_addc_co_u32_e32 v42, vcc, v42, v33, vcc
	v_lshlrev_b64 v[32:33], 4, v[114:115]
	v_fma_f64 v[30:31], v[67:68], 2.0, -v[55:56]
	v_add_co_u32_e32 v68, vcc, v43, v32
	v_add_u32_e32 v48, 0x3c0, v48
	v_add_u32_e32 v67, 0x78, v112
	v_addc_co_u32_e32 v73, vcc, v42, v33, vcc
	v_mad_u64_u32 v[42:43], s[2:3], s20, v48, 0
	v_mul_hi_u32 v74, v67, s0
	v_fma_f64 v[28:29], v[28:29], 2.0, -v[53:54]
	v_lshlrev_b64 v[32:33], 4, v[65:66]
	v_mad_u64_u32 v[65:66], s[2:3], s21, v48, v[43:44]
	v_lshrrev_b32_e32 v43, 9, v74
	v_mul_u32_u24_e32 v48, 0x3c0, v43
	v_sub_u32_e32 v48, v67, v48
	v_mad_u32_u24 v48, v43, s1, v48
	v_mad_u64_u32 v[66:67], s[2:3], s20, v48, 0
	v_add_co_u32_e32 v32, vcc, v68, v32
	v_addc_co_u32_e32 v33, vcc, v73, v33, vcc
	global_store_dwordx4 v[32:33], v[28:31], off
	v_add_u32_e32 v32, 0x3c0, v48
	v_mov_b32_e32 v30, v67
	v_mad_u64_u32 v[30:31], s[2:3], s21, v48, v[30:31]
	v_mov_b32_e32 v43, v65
	v_add_u32_e32 v33, 0xf0, v112
	v_mov_b32_e32 v67, v30
	v_mad_u64_u32 v[30:31], s[2:3], s20, v32, 0
	v_lshlrev_b64 v[28:29], 4, v[42:43]
	v_mul_hi_u32 v42, v33, s0
	v_mad_u64_u32 v[31:32], s[2:3], s21, v32, v[31:32]
	v_add_co_u32_e32 v28, vcc, v68, v28
	v_lshrrev_b32_e32 v32, 9, v42
	v_mul_u32_u24_e32 v42, 0x3c0, v32
	v_sub_u32_e32 v33, v33, v42
	v_addc_co_u32_e32 v29, vcc, v73, v29, vcc
	v_mad_u32_u24 v42, v32, s1, v33
	global_store_dwordx4 v[28:29], v[53:56], off
	v_lshlrev_b64 v[28:29], 4, v[66:67]
	v_mad_u64_u32 v[32:33], s[2:3], s20, v42, 0
	v_add_co_u32_e32 v28, vcc, v68, v28
	v_addc_co_u32_e32 v29, vcc, v73, v29, vcc
	global_store_dwordx4 v[28:29], v[61:64], off
	v_lshlrev_b64 v[28:29], 4, v[30:31]
	v_mov_b32_e32 v30, v33
	v_mad_u64_u32 v[30:31], s[2:3], s21, v42, v[30:31]
	v_add_co_u32_e32 v28, vcc, v68, v28
	v_addc_co_u32_e32 v29, vcc, v73, v29, vcc
	global_store_dwordx4 v[28:29], v[4:7], off
	v_mov_b32_e32 v33, v30
	v_add_u32_e32 v28, 0x3c0, v42
	v_add_u32_e32 v30, 0x168, v112
	v_mad_u64_u32 v[6:7], s[2:3], s20, v28, 0
	v_mul_hi_u32 v31, v30, s0
	v_lshlrev_b64 v[4:5], 4, v[32:33]
	v_mad_u64_u32 v[28:29], s[2:3], s21, v28, v[7:8]
	v_lshrrev_b32_e32 v7, 9, v31
	v_mul_u32_u24_e32 v29, 0x3c0, v7
	v_sub_u32_e32 v29, v30, v29
	v_mad_u32_u24 v31, v7, s1, v29
	v_mad_u64_u32 v[29:30], s[2:3], s20, v31, 0
	v_add_co_u32_e32 v4, vcc, v68, v4
	v_addc_co_u32_e32 v5, vcc, v73, v5, vcc
	global_store_dwordx4 v[4:5], v[0:3], off
	v_add_u32_e32 v4, 0x3c0, v31
	v_mov_b32_e32 v2, v30
	v_mad_u64_u32 v[2:3], s[2:3], s21, v31, v[2:3]
	v_mov_b32_e32 v7, v28
	v_add_u32_e32 v5, 0x1e0, v112
	v_mov_b32_e32 v30, v2
	v_mad_u64_u32 v[2:3], s[2:3], s20, v4, 0
	v_lshlrev_b64 v[0:1], 4, v[6:7]
	v_mul_hi_u32 v6, v5, s0
	v_mad_u64_u32 v[3:4], s[2:3], s21, v4, v[3:4]
	v_add_co_u32_e32 v0, vcc, v68, v0
	v_lshrrev_b32_e32 v4, 9, v6
	v_mul_u32_u24_e32 v6, 0x3c0, v4
	v_sub_u32_e32 v5, v5, v6
	v_addc_co_u32_e32 v1, vcc, v73, v1, vcc
	v_mad_u32_u24 v6, v4, s1, v5
	global_store_dwordx4 v[0:1], v[8:11], off
	v_lshlrev_b64 v[0:1], 4, v[29:30]
	v_mad_u64_u32 v[4:5], s[2:3], s20, v6, 0
	v_add_co_u32_e32 v0, vcc, v68, v0
	v_addc_co_u32_e32 v1, vcc, v73, v1, vcc
	global_store_dwordx4 v[0:1], v[57:60], off
	v_lshlrev_b64 v[0:1], 4, v[2:3]
	v_mov_b32_e32 v2, v5
	v_mad_u64_u32 v[2:3], s[2:3], s21, v6, v[2:3]
	v_add_co_u32_e32 v0, vcc, v68, v0
	v_addc_co_u32_e32 v1, vcc, v73, v1, vcc
	v_mov_b32_e32 v5, v2
	global_store_dwordx4 v[0:1], v[69:72], off
	v_lshlrev_b64 v[0:1], 4, v[4:5]
	v_add_u32_e32 v4, 0x3c0, v6
	v_mad_u64_u32 v[2:3], s[2:3], s20, v4, 0
	v_add_u32_e32 v5, 0x258, v112
	v_mul_hi_u32 v6, v5, s0
	v_mad_u64_u32 v[3:4], s[2:3], s21, v4, v[3:4]
	v_add_co_u32_e32 v0, vcc, v68, v0
	v_lshrrev_b32_e32 v4, 9, v6
	v_mul_u32_u24_e32 v6, 0x3c0, v4
	v_sub_u32_e32 v5, v5, v6
	v_mad_u32_u24 v6, v4, s1, v5
	v_mad_u64_u32 v[4:5], s[2:3], s20, v6, 0
	v_addc_co_u32_e32 v1, vcc, v73, v1, vcc
	global_store_dwordx4 v[0:1], v[12:15], off
	v_lshlrev_b64 v[0:1], 4, v[2:3]
	v_mov_b32_e32 v2, v5
	v_mad_u64_u32 v[2:3], s[2:3], s21, v6, v[2:3]
	v_add_co_u32_e32 v0, vcc, v68, v0
	v_addc_co_u32_e32 v1, vcc, v73, v1, vcc
	v_mov_b32_e32 v5, v2
	global_store_dwordx4 v[0:1], v[49:52], off
	v_lshlrev_b64 v[0:1], 4, v[4:5]
	v_add_u32_e32 v4, 0x3c0, v6
	v_mad_u64_u32 v[2:3], s[2:3], s20, v4, 0
	v_add_u32_e32 v5, 0x2d0, v112
	v_mul_hi_u32 v6, v5, s0
	v_mad_u64_u32 v[3:4], s[2:3], s21, v4, v[3:4]
	v_add_co_u32_e32 v0, vcc, v68, v0
	v_lshrrev_b32_e32 v4, 9, v6
	v_mul_u32_u24_e32 v6, 0x3c0, v4
	v_sub_u32_e32 v5, v5, v6
	v_mad_u32_u24 v6, v4, s1, v5
	v_mad_u64_u32 v[4:5], s[2:3], s20, v6, 0
	v_addc_co_u32_e32 v1, vcc, v73, v1, vcc
	global_store_dwordx4 v[0:1], v[16:19], off
	v_lshlrev_b64 v[0:1], 4, v[2:3]
	v_mov_b32_e32 v2, v5
	v_mad_u64_u32 v[2:3], s[2:3], s21, v6, v[2:3]
	v_add_co_u32_e32 v0, vcc, v68, v0
	v_addc_co_u32_e32 v1, vcc, v73, v1, vcc
	v_mov_b32_e32 v5, v2
	global_store_dwordx4 v[0:1], v[20:23], off
	v_lshlrev_b64 v[0:1], 4, v[4:5]
	v_add_u32_e32 v4, 0x3c0, v6
	v_mad_u64_u32 v[2:3], s[2:3], s20, v4, 0
	v_add_co_u32_e32 v0, vcc, v68, v0
	v_mad_u64_u32 v[3:4], s[2:3], s21, v4, v[3:4]
	v_add_u32_e32 v4, 0x348, v112
	v_mul_hi_u32 v5, v4, s0
	v_addc_co_u32_e32 v1, vcc, v73, v1, vcc
	global_store_dwordx4 v[0:1], v[34:37], off
	v_lshlrev_b64 v[0:1], 4, v[2:3]
	v_lshrrev_b32_e32 v2, 9, v5
	v_mul_u32_u24_e32 v3, 0x3c0, v2
	v_sub_u32_e32 v3, v4, v3
	v_mad_u32_u24 v5, v2, s1, v3
	v_mad_u64_u32 v[2:3], s[0:1], s20, v5, 0
	v_add_u32_e32 v6, 0x3c0, v5
	v_add_co_u32_e32 v0, vcc, v68, v0
	v_mad_u64_u32 v[3:4], s[0:1], s21, v5, v[3:4]
	v_mad_u64_u32 v[4:5], s[0:1], s20, v6, 0
	v_addc_co_u32_e32 v1, vcc, v73, v1, vcc
	global_store_dwordx4 v[0:1], v[38:41], off
	v_lshlrev_b64 v[0:1], 4, v[2:3]
	v_mov_b32_e32 v2, v5
	v_mad_u64_u32 v[2:3], s[0:1], s21, v6, v[2:3]
	v_add_co_u32_e32 v0, vcc, v68, v0
	v_addc_co_u32_e32 v1, vcc, v73, v1, vcc
	v_mov_b32_e32 v5, v2
	global_store_dwordx4 v[0:1], v[44:47], off
	v_lshlrev_b64 v[0:1], 4, v[4:5]
	v_add_co_u32_e32 v0, vcc, v68, v0
	v_addc_co_u32_e32 v1, vcc, v73, v1, vcc
	global_store_dwordx4 v[0:1], v[24:27], off
.LBB0_29:
	s_endpgm
	.section	.rodata,"a",@progbits
	.p2align	6, 0x0
	.amdhsa_kernel fft_rtc_fwd_len1920_factors_10_6_16_2_wgs_240_tpt_120_halfLds_dp_op_CI_CI_sbrr_dirReg
		.amdhsa_group_segment_fixed_size 0
		.amdhsa_private_segment_fixed_size 0
		.amdhsa_kernarg_size 104
		.amdhsa_user_sgpr_count 6
		.amdhsa_user_sgpr_private_segment_buffer 1
		.amdhsa_user_sgpr_dispatch_ptr 0
		.amdhsa_user_sgpr_queue_ptr 0
		.amdhsa_user_sgpr_kernarg_segment_ptr 1
		.amdhsa_user_sgpr_dispatch_id 0
		.amdhsa_user_sgpr_flat_scratch_init 0
		.amdhsa_user_sgpr_private_segment_size 0
		.amdhsa_uses_dynamic_stack 0
		.amdhsa_system_sgpr_private_segment_wavefront_offset 0
		.amdhsa_system_sgpr_workgroup_id_x 1
		.amdhsa_system_sgpr_workgroup_id_y 0
		.amdhsa_system_sgpr_workgroup_id_z 0
		.amdhsa_system_sgpr_workgroup_info 0
		.amdhsa_system_vgpr_workitem_id 0
		.amdhsa_next_free_vgpr 181
		.amdhsa_next_free_sgpr 32
		.amdhsa_reserve_vcc 1
		.amdhsa_reserve_flat_scratch 0
		.amdhsa_float_round_mode_32 0
		.amdhsa_float_round_mode_16_64 0
		.amdhsa_float_denorm_mode_32 3
		.amdhsa_float_denorm_mode_16_64 3
		.amdhsa_dx10_clamp 1
		.amdhsa_ieee_mode 1
		.amdhsa_fp16_overflow 0
		.amdhsa_exception_fp_ieee_invalid_op 0
		.amdhsa_exception_fp_denorm_src 0
		.amdhsa_exception_fp_ieee_div_zero 0
		.amdhsa_exception_fp_ieee_overflow 0
		.amdhsa_exception_fp_ieee_underflow 0
		.amdhsa_exception_fp_ieee_inexact 0
		.amdhsa_exception_int_div_zero 0
	.end_amdhsa_kernel
	.text
.Lfunc_end0:
	.size	fft_rtc_fwd_len1920_factors_10_6_16_2_wgs_240_tpt_120_halfLds_dp_op_CI_CI_sbrr_dirReg, .Lfunc_end0-fft_rtc_fwd_len1920_factors_10_6_16_2_wgs_240_tpt_120_halfLds_dp_op_CI_CI_sbrr_dirReg
                                        ; -- End function
	.section	.AMDGPU.csdata,"",@progbits
; Kernel info:
; codeLenInByte = 12600
; NumSgprs: 36
; NumVgprs: 181
; ScratchSize: 0
; MemoryBound: 1
; FloatMode: 240
; IeeeMode: 1
; LDSByteSize: 0 bytes/workgroup (compile time only)
; SGPRBlocks: 4
; VGPRBlocks: 45
; NumSGPRsForWavesPerEU: 36
; NumVGPRsForWavesPerEU: 181
; Occupancy: 1
; WaveLimiterHint : 1
; COMPUTE_PGM_RSRC2:SCRATCH_EN: 0
; COMPUTE_PGM_RSRC2:USER_SGPR: 6
; COMPUTE_PGM_RSRC2:TRAP_HANDLER: 0
; COMPUTE_PGM_RSRC2:TGID_X_EN: 1
; COMPUTE_PGM_RSRC2:TGID_Y_EN: 0
; COMPUTE_PGM_RSRC2:TGID_Z_EN: 0
; COMPUTE_PGM_RSRC2:TIDIG_COMP_CNT: 0
	.type	__hip_cuid_987b359fe2fdb847,@object ; @__hip_cuid_987b359fe2fdb847
	.section	.bss,"aw",@nobits
	.globl	__hip_cuid_987b359fe2fdb847
__hip_cuid_987b359fe2fdb847:
	.byte	0                               ; 0x0
	.size	__hip_cuid_987b359fe2fdb847, 1

	.ident	"AMD clang version 19.0.0git (https://github.com/RadeonOpenCompute/llvm-project roc-6.4.0 25133 c7fe45cf4b819c5991fe208aaa96edf142730f1d)"
	.section	".note.GNU-stack","",@progbits
	.addrsig
	.addrsig_sym __hip_cuid_987b359fe2fdb847
	.amdgpu_metadata
---
amdhsa.kernels:
  - .args:
      - .actual_access:  read_only
        .address_space:  global
        .offset:         0
        .size:           8
        .value_kind:     global_buffer
      - .offset:         8
        .size:           8
        .value_kind:     by_value
      - .actual_access:  read_only
        .address_space:  global
        .offset:         16
        .size:           8
        .value_kind:     global_buffer
      - .actual_access:  read_only
        .address_space:  global
        .offset:         24
        .size:           8
        .value_kind:     global_buffer
      - .actual_access:  read_only
        .address_space:  global
        .offset:         32
        .size:           8
        .value_kind:     global_buffer
      - .offset:         40
        .size:           8
        .value_kind:     by_value
      - .actual_access:  read_only
        .address_space:  global
        .offset:         48
        .size:           8
        .value_kind:     global_buffer
      - .actual_access:  read_only
        .address_space:  global
        .offset:         56
        .size:           8
        .value_kind:     global_buffer
      - .offset:         64
        .size:           4
        .value_kind:     by_value
      - .actual_access:  read_only
        .address_space:  global
        .offset:         72
        .size:           8
        .value_kind:     global_buffer
      - .actual_access:  read_only
        .address_space:  global
        .offset:         80
        .size:           8
        .value_kind:     global_buffer
      - .actual_access:  read_only
        .address_space:  global
        .offset:         88
        .size:           8
        .value_kind:     global_buffer
      - .actual_access:  write_only
        .address_space:  global
        .offset:         96
        .size:           8
        .value_kind:     global_buffer
    .group_segment_fixed_size: 0
    .kernarg_segment_align: 8
    .kernarg_segment_size: 104
    .language:       OpenCL C
    .language_version:
      - 2
      - 0
    .max_flat_workgroup_size: 240
    .name:           fft_rtc_fwd_len1920_factors_10_6_16_2_wgs_240_tpt_120_halfLds_dp_op_CI_CI_sbrr_dirReg
    .private_segment_fixed_size: 0
    .sgpr_count:     36
    .sgpr_spill_count: 0
    .symbol:         fft_rtc_fwd_len1920_factors_10_6_16_2_wgs_240_tpt_120_halfLds_dp_op_CI_CI_sbrr_dirReg.kd
    .uniform_work_group_size: 1
    .uses_dynamic_stack: false
    .vgpr_count:     181
    .vgpr_spill_count: 0
    .wavefront_size: 64
amdhsa.target:   amdgcn-amd-amdhsa--gfx906
amdhsa.version:
  - 1
  - 2
...

	.end_amdgpu_metadata
